;; amdgpu-corpus repo=ROCm/aiter kind=harvested arch=n/a opt=n/a

/root/src/amdgpu-assembly/repos/ROCm__aiter/hsa/gfx942/fmha_v3_bwd/bwd_hd64_bf16_causal_a32_rtz_pssk_group.co:	file format elf64-amdgpu

Disassembly of section .text:

0000000000003e00 <_ZN5aiter44fmha_bwd_hd64_bf16_causal_a32_rtz_pssk_groupE>:
	s_and_b32 s1, s1, 0xffff                                   // 000000003E00: 8601FF01 0000FFFF
	s_load_dwordx2 s[32:33], s[0:1], 0x0                       // 000000003E08: C0060800 00000000
	s_load_dwordx2 s[36:37], s[0:1], 0x10                      // 000000003E10: C0060900 00000010
	s_load_dwordx2 s[40:41], s[0:1], 0x20                      // 000000003E18: C0060A00 00000020
	s_load_dwordx2 s[8:9], s[0:1], 0x30                        // 000000003E20: C0060200 00000030
	s_load_dwordx2 s[12:13], s[0:1], 0x40                      // 000000003E28: C0060300 00000040
	s_load_dwordx2 s[16:17], s[0:1], 0x50                      // 000000003E30: C0060400 00000050
	s_load_dwordx2 s[20:21], s[0:1], 0x60                      // 000000003E38: C0060500 00000060
	s_load_dwordx2 s[24:25], s[0:1], 0x70                      // 000000003E40: C0060600 00000070
	s_load_dwordx2 s[28:29], s[0:1], 0x80                      // 000000003E48: C0060700 00000080
	s_load_dword s47, s[0:1], 0x90                             // 000000003E50: C0020BC0 00000090
	s_load_dword s48, s[0:1], 0xa0                             // 000000003E58: C0020C00 000000A0
	s_load_dword s78, s[0:1], 0xd0                             // 000000003E60: C0021380 000000D0
	s_load_dword s5, s[0:1], 0xf0                              // 000000003E68: C0020140 000000F0
	s_load_dword s44, s[0:1], 0x100                            // 000000003E70: C0020B00 00000100
	s_load_dword s79, s[0:1], 0x110                            // 000000003E78: C00213C0 00000110
	s_load_dword s6, s[0:1], 0x130                             // 000000003E80: C0020180 00000130
	s_load_dword s52, s[0:1], 0x140                            // 000000003E88: C0020D00 00000140
	s_load_dword s80, s[0:1], 0x190                            // 000000003E90: C0021400 00000190
	s_load_dword s7, s[0:1], 0x1b0                             // 000000003E98: C00201C0 000001B0
	s_load_dword s81, s[0:1], 0x1c0                            // 000000003EA0: C0021440 000001C0
	s_load_dword s51, s[0:1], 0x1e0                            // 000000003EA8: C0020CC0 000001E0
	s_load_dword s82, s[0:1], 0x1f0                            // 000000003EB0: C0021480 000001F0
	s_load_dword s83, s[0:1], 0x210                            // 000000003EB8: C00214C0 00000210
	s_load_dword s53, s[0:1], 0x230                            // 000000003EC0: C0020D40 00000230
	s_load_dword s49, s[0:1], 0x240                            // 000000003EC8: C0020C40 00000240
	s_load_dwordx2 s[88:89], s[0:1], 0x250                     // 000000003ED0: C0061600 00000250
	s_load_dwordx2 s[92:93], s[0:1], 0x260                     // 000000003ED8: C0061700 00000260
	s_load_dwordx2 s[96:97], s[0:1], 0x270                     // 000000003EE0: C0061800 00000270
	s_load_dwordx2 s[100:101], s[0:1], 0x280                   // 000000003EE8: C0061900 00000280
	v_lshrrev_b32_e32 v1, 10, v0                               // 000000003EF0: 2002008A
	v_lshrrev_b32_e32 v2, 10, v1                               // 000000003EF4: 2004028A
	v_and_b32_e32 v2, 0x3ff, v2                                // 000000003EF8: 260404FF 000003FF
	v_and_b32_e32 v1, 0x3ff, v1                                // 000000003F00: 260202FF 000003FF
	v_and_b32_e32 v0, 0x3ff, v0                                // 000000003F08: 260000FF 000003FF
	v_lshrrev_b32_e32 v3, 6, v0                                // 000000003F10: 20060086
	v_and_b32_e32 v0, 63, v0                                   // 000000003F14: 260000BF
	s_mov_b32 s2, s2                                           // 000000003F18: BE820002
	s_mov_b32 s3, s3                                           // 000000003F1C: BE830003
	s_mov_b32 s4, s4                                           // 000000003F20: BE840004
	v_readfirstlane_b32 s46, v3                                // 000000003F24: 7E5C0503
	s_waitcnt lgkmcnt(0)                                       // 000000003F28: BF8CC07F
	s_mul_i32 s60, s4, 4                                       // 000000003F2C: 923C8404
	s_add_u32 s88, s60, s88                                    // 000000003F30: 8058583C
	s_addc_u32 s89, 0, s89                                     // 000000003F34: 82595980
	s_load_dwordx2 s[84:85], s[88:89], 0x0                     // 000000003F38: C006152C 00000000
	s_add_u32 s96, s60, s96                                    // 000000003F40: 8060603C
	s_addc_u32 s97, 0, s97                                     // 000000003F44: 82616180
	s_load_dword s90, s[96:97], 0x0                            // 000000003F48: C00216B0 00000000
	s_add_u32 s92, s60, s92                                    // 000000003F50: 805C5C3C
	s_addc_u32 s93, 0, s93                                     // 000000003F54: 825D5D80
	s_load_dwordx2 s[86:87], s[92:93], 0x0                     // 000000003F58: C00615AE 00000000
	s_add_u32 s100, s60, s100                                  // 000000003F60: 8064643C
	s_addc_u32 s101, 0, s101                                   // 000000003F64: 82656580
	s_load_dword s94, s[100:101], 0x0                          // 000000003F68: C00217B2 00000000
	s_mov_b32 s11, 0x20000                                     // 000000003F70: BE8B00FF 00020000
	s_mov_b32 s15, 0x20000                                     // 000000003F78: BE8F00FF 00020000
	s_mov_b32 s19, 0x20000                                     // 000000003F80: BE9300FF 00020000
	s_mov_b32 s23, 0x20000                                     // 000000003F88: BE9700FF 00020000
	s_mov_b32 s27, 0x20000                                     // 000000003F90: BE9B00FF 00020000
	s_mov_b32 s31, 0x20000                                     // 000000003F98: BE9F00FF 00020000
	s_mov_b32 s35, 0x20000                                     // 000000003FA0: BEA300FF 00020000
	s_mov_b32 s39, 0x20000                                     // 000000003FA8: BEA700FF 00020000
	s_mov_b32 s43, 0x20000                                     // 000000003FB0: BEAB00FF 00020000
	s_and_b32 s9, s9, 0xffff                                   // 000000003FB8: 8609FF09 0000FFFF
	s_and_b32 s13, s13, 0xffff                                 // 000000003FC0: 860DFF0D 0000FFFF
	s_and_b32 s17, s17, 0xffff                                 // 000000003FC8: 8611FF11 0000FFFF
	s_and_b32 s21, s21, 0xffff                                 // 000000003FD0: 8615FF15 0000FFFF
	s_and_b32 s25, s25, 0xffff                                 // 000000003FD8: 8619FF19 0000FFFF
	s_and_b32 s29, s29, 0xffff                                 // 000000003FE0: 861DFF1D 0000FFFF
	s_and_b32 s33, s33, 0xffff                                 // 000000003FE8: 8621FF21 0000FFFF
	s_and_b32 s37, s37, 0xffff                                 // 000000003FF0: 8625FF25 0000FFFF
	s_and_b32 s41, s41, 0xffff                                 // 000000003FF8: 8629FF29 0000FFFF
	s_or_b32 s9, s9, 0x40000                                   // 000000004000: 8709FF09 00040000
	s_or_b32 s13, s13, 0x40000                                 // 000000004008: 870DFF0D 00040000
	s_or_b32 s17, s17, 0x40000                                 // 000000004010: 8711FF11 00040000
	s_or_b32 s21, s21, 0x40000                                 // 000000004018: 8715FF15 00040000
	s_or_b32 s25, s25, 0x40000                                 // 000000004020: 8719FF19 00040000
	s_or_b32 s29, s29, 0x40000                                 // 000000004028: 871DFF1D 00040000
	s_or_b32 s33, s33, 0x40000                                 // 000000004030: 8721FF21 00040000
	s_or_b32 s37, s37, 0x40000                                 // 000000004038: 8725FF25 00040000
	s_or_b32 s41, s41, 0x40000                                 // 000000004040: 8729FF29 00040000
	v_accvgpr_write_b32 a159, 0                                // 000000004048: D3D9409F 18000080
	v_mov_b32_e32 v235, 0                                      // 000000004050: 7FD60280
	s_mov_b32 s71, s3                                          // 000000004054: BEC70003
	v_cvt_f32_u32_e32 v32, s44                                 // 000000004058: 7E400C2C
	s_sub_i32 s60, 0, s44                                      // 00000000405C: 81BC2C80
	v_rcp_iflag_f32_e32 v32, v32                               // 000000004060: 7E404720
	s_nop 0                                                    // 000000004064: BF800000
	v_mul_f32_e32 v32, 0x4f7ffffe, v32                         // 000000004068: 0A4040FF 4F7FFFFE
	v_cvt_u32_f32_e32 v32, v32                                 // 000000004070: 7E400F20
	v_mul_lo_u32 v33, s60, v32                                 // 000000004074: D2850021 0002403C
	v_mul_hi_u32 v33, v32, v33                                 // 00000000407C: D2860021 00024320
	v_add_u32_e32 v32, v32, v33                                // 000000004084: 68404320
	v_mul_hi_u32 v32, s71, v32                                 // 000000004088: D2860020 00024047
	v_mul_lo_u32 v33, v32, s44                                 // 000000004090: D2850021 00005920
	v_sub_u32_e32 v35, s71, v33                                // 000000004098: 6A464247
	v_add_u32_e32 v34, 1, v32                                  // 00000000409C: 68444081
	v_cmp_le_u32_e32 vcc, s44, v35                             // 0000000040A0: 7D96462C
	v_subrev_u32_e32 v33, s44, v35                             // 0000000040A4: 6C42462C
	s_nop 0                                                    // 0000000040A8: BF800000
	v_cndmask_b32_e32 v32, v32, v34, vcc                       // 0000000040AC: 00404520
	v_cndmask_b32_e32 v35, v35, v33, vcc                       // 0000000040B0: 00464323
	v_add_u32_e32 v33, 1, v32                                  // 0000000040B4: 68424081
	v_cmp_le_u32_e32 vcc, s44, v35                             // 0000000040B8: 7D96462C
	s_nop 1                                                    // 0000000040BC: BF800001
	v_cndmask_b32_e32 v35, v32, v33, vcc                       // 0000000040C0: 00464320
	s_nop 3                                                    // 0000000040C4: BF800003
	v_readfirstlane_b32 s45, v35                               // 0000000040C8: 7E5A0523
	s_nop 3                                                    // 0000000040CC: BF800003
	s_waitcnt lgkmcnt(0)                                       // 0000000040D0: BF8CC07F
	s_mul_i32 s61, s2, 0x180                                   // 0000000040D4: 923DFF02 00000180
	s_sub_i32 s87, s87, s86                                    // 0000000040DC: 81D75657
	s_mov_b32 s86, s94                                         // 0000000040E0: BED6005E
	s_sub_i32 s85, s85, s84                                    // 0000000040E4: 81D55455
	s_mov_b32 s84, s90                                         // 0000000040E8: BED4005A
	s_cmp_gt_i32 s85, 0                                        // 0000000040EC: BF028055
	s_cbranch_scc0 label_1C94                                  // 0000000040F0: BF841BB3
	s_mov_b32 s59, 0                                           // 0000000040F4: BEBB0080
	s_mov_b32 s58, s85                                         // 0000000040F8: BEBA0055
	s_cmp_ge_i32 s61, s87                                      // 0000000040FC: BF03573D
	s_cbranch_scc1 label_1C94                                  // 000000004100: BF851BAF
	s_mul_i32 s61, s45, s79                                    // 000000004104: 923D4F2D
	s_mov_b32 s54, s61                                         // 000000004108: BEB6003D
	s_add_u32 s12, s54, s12                                    // 00000000410C: 800C0C36
	s_addc_u32 s13, 0, s13                                     // 000000004110: 820D0D80
	s_mul_i32 s60, s86, s6                                     // 000000004114: 923C0656
	s_mul_hi_u32 s61, s86, s6                                  // 000000004118: 963D0656
	s_and_b32 s61, s61, 0xffff                                 // 00000000411C: 863DFF3D 0000FFFF
	s_add_u32 s12, s12, s60                                    // 000000004124: 800C3C0C
	s_addc_u32 s13, s13, s61                                   // 000000004128: 820D3D0D
	s_mul_i32 s61, s45, s80                                    // 00000000412C: 923D502D
	s_mov_b32 s54, s61                                         // 000000004130: BEB6003D
	s_add_u32 s16, s54, s16                                    // 000000004134: 80101036
	s_addc_u32 s17, 0, s17                                     // 000000004138: 82111180
	s_mul_i32 s60, s86, s7                                     // 00000000413C: 923C0756
	s_mul_hi_u32 s61, s86, s7                                  // 000000004140: 963D0756
	s_and_b32 s61, s61, 0xffff                                 // 000000004144: 863DFF3D 0000FFFF
	s_add_u32 s16, s16, s60                                    // 00000000414C: 80103C10
	s_addc_u32 s17, s17, s61                                   // 000000004150: 82113D11
	s_mul_i32 s61, s3, s78                                     // 000000004154: 923D4E03
	s_mov_b32 s55, s61                                         // 000000004158: BEB7003D
	s_add_u32 s8, s55, s8                                      // 00000000415C: 80080837
	s_addc_u32 s9, 0, s9                                       // 000000004160: 82090980
	s_mul_i32 s60, s84, s5                                     // 000000004164: 923C0554
	s_mul_hi_u32 s61, s84, s5                                  // 000000004168: 963D0554
	s_and_b32 s61, s61, 0xffff                                 // 00000000416C: 863DFF3D 0000FFFF
	s_add_u32 s8, s8, s60                                      // 000000004174: 80083C08
	s_addc_u32 s9, s9, s61                                     // 000000004178: 82093D09
	s_mul_i32 s61, s3, s81                                     // 00000000417C: 923D5103
	s_mov_b32 s56, s61                                         // 000000004180: BEB8003D
	s_add_u32 s20, s56, s20                                    // 000000004184: 80141438
	s_addc_u32 s21, 0, s21                                     // 000000004188: 82151580
	s_mul_i32 s60, s84, s51                                    // 00000000418C: 923C3354
	s_mul_hi_u32 s61, s84, s51                                 // 000000004190: 963D3354
	s_and_b32 s61, s61, 0xffff                                 // 000000004194: 863DFF3D 0000FFFF
	s_add_u32 s20, s20, s60                                    // 00000000419C: 80143C14
	s_addc_u32 s21, s21, s61                                   // 0000000041A0: 82153D15
	s_mul_i32 s62, 4, s84                                      // 0000000041A4: 923E5484
	s_mul_i32 s61, s3, s49                                     // 0000000041A8: 923D3103
	s_add_u32 s65, s61, s62                                    // 0000000041AC: 80413E3D
	s_mov_b32 s26, s85                                         // 0000000041B0: BE9A0055
	s_mov_b32 s30, s85                                         // 0000000041B4: BE9E0055
	s_add_u32 s24, s65, s24                                    // 0000000041B8: 80181841
	s_addc_u32 s25, 0, s25                                     // 0000000041BC: 82191980
	s_add_u32 s28, s65, s28                                    // 0000000041C0: 801C1C41
	s_addc_u32 s29, 0, s29                                     // 0000000041C4: 821D1D80
	s_mul_i32 s61, s3, s82                                     // 0000000041C8: 923D5203
	s_mul_i32 s62, s86, s52                                    // 0000000041CC: 923E3456
	s_add_u32 s60, s61, s62                                    // 0000000041D0: 803C3E3D
	s_mul_hi_u32 s61, s86, s52                                 // 0000000041D4: 963D3456
	s_and_b32 s61, s61, 0xffff                                 // 0000000041D8: 863DFF3D 0000FFFF
	s_add_u32 s36, s60, s36                                    // 0000000041E0: 8024243C
	s_addc_u32 s37, s61, s37                                   // 0000000041E4: 8225253D
	s_mul_i32 s60, s87, s52                                    // 0000000041E8: 923C3457
	s_lshr_b32 s60, s60, 2                                     // 0000000041EC: 8F3C823C
	s_mov_b32 s38, s60                                         // 0000000041F0: BEA6003C
	s_mul_i32 s61, s3, s83                                     // 0000000041F4: 923D5303
	s_mul_i32 s62, s86, s53                                    // 0000000041F8: 923E3556
	s_add_u32 s60, s61, s62                                    // 0000000041FC: 803C3E3D
	s_mul_hi_u32 s61, s86, s53                                 // 000000004200: 963D3556
	s_and_b32 s61, s61, 0xffff                                 // 000000004204: 863DFF3D 0000FFFF
	s_add_u32 s40, s60, s40                                    // 00000000420C: 8028283C
	s_addc_u32 s41, s61, s41                                   // 000000004210: 8229293D
	s_mul_i32 s60, s87, s53                                    // 000000004214: 923C3557
	s_lshr_b32 s60, s60, 2                                     // 000000004218: 8F3C823C
	s_mov_b32 s42, s60                                         // 00000000421C: BEAA003C
	s_mul_i32 s60, 64, s65                                     // 000000004220: 923C41C0
	s_mul_hi_u32 s61, 64, s65                                  // 000000004224: 963D41C0
	s_and_b32 s61, s61, 0xffff                                 // 000000004228: 863DFF3D 0000FFFF
	s_add_u32 s32, s60, s32                                    // 000000004230: 8020203C
	s_addc_u32 s33, s61, s33                                   // 000000004234: 8221213D
	s_mul_i32 s60, 64, s85                                     // 000000004238: 923C55C0
	s_mov_b32 s34, s60                                         // 00000000423C: BEA2003C
	s_mov_b32 s90, s8                                          // 000000004240: BEDA0008
	s_mov_b32 s94, s12                                         // 000000004244: BEDE000C
	s_mov_b32 s96, s16                                         // 000000004248: BEE00010
	s_mov_b32 s98, s20                                         // 00000000424C: BEE20014
	s_mov_b32 s91, s9                                          // 000000004250: BEDB0009
	s_mov_b32 s95, s13                                         // 000000004254: BEDF000D
	s_mov_b32 s97, s17                                         // 000000004258: BEE10011
	s_mov_b32 s99, s21                                         // 00000000425C: BEE30015
	s_add_u32 s71, 0xbf, s87                                   // 000000004260: 804757FF 000000BF
	s_mov_b32 s74, 0xc0                                        // 000000004268: BECA00FF 000000C0
	v_cvt_f32_u32_e32 v32, s74                                 // 000000004270: 7E400C4A
	s_sub_i32 s60, 0, s74                                      // 000000004274: 81BC4A80
	v_rcp_iflag_f32_e32 v32, v32                               // 000000004278: 7E404720
	s_nop 0                                                    // 00000000427C: BF800000
	v_mul_f32_e32 v32, 0x4f7ffffe, v32                         // 000000004280: 0A4040FF 4F7FFFFE
	v_cvt_u32_f32_e32 v32, v32                                 // 000000004288: 7E400F20
	v_mul_lo_u32 v33, s60, v32                                 // 00000000428C: D2850021 0002403C
	v_mul_hi_u32 v33, v32, v33                                 // 000000004294: D2860021 00024320
	v_add_u32_e32 v32, v32, v33                                // 00000000429C: 68404320
	v_mul_hi_u32 v32, s71, v32                                 // 0000000042A0: D2860020 00024047
	v_mul_lo_u32 v33, v32, s74                                 // 0000000042A8: D2850021 00009520
	v_sub_u32_e32 v35, s71, v33                                // 0000000042B0: 6A464247
	v_add_u32_e32 v34, 1, v32                                  // 0000000042B4: 68444081
	v_cmp_le_u32_e32 vcc, s74, v35                             // 0000000042B8: 7D96464A
	v_subrev_u32_e32 v33, s74, v35                             // 0000000042BC: 6C42464A
	s_nop 0                                                    // 0000000042C0: BF800000
	v_cndmask_b32_e32 v32, v32, v34, vcc                       // 0000000042C4: 00404520
	v_cndmask_b32_e32 v35, v35, v33, vcc                       // 0000000042C8: 00464323
	v_add_u32_e32 v33, 1, v32                                  // 0000000042CC: 68424081
	v_cmp_le_u32_e32 vcc, s74, v35                             // 0000000042D0: 7D96464A
	s_nop 1                                                    // 0000000042D4: BF800001
	v_cndmask_b32_e32 v35, v32, v33, vcc                       // 0000000042D8: 00464320
	s_nop 3                                                    // 0000000042DC: BF800003
	v_readfirstlane_b32 s77, v35                               // 0000000042E0: 7E9A0523
	s_nop 3                                                    // 0000000042E4: BF800003
	v_mov_b32_e32 v32, s47                                     // 0000000042E8: 7E40022F
	v_mul_f32_e32 v32, s48, v32                                // 0000000042EC: 0A404030
	v_mov_b32_e32 v229, 0xffff0000                             // 0000000042F0: 7FCA02FF FFFF0000
	v_mov_b32_e32 v230, 0x7fff0000                             // 0000000042F8: 7FCC02FF 7FFF0000
	v_mov_b32_e32 v231, 0x7fff                                 // 000000004300: 7FCE02FF 00007FFF
	s_mov_b32 s63, 0x5040100                                   // 000000004308: BEBF00FF 05040100
	s_mov_b32 s64, 0x7060302                                   // 000000004310: BEC000FF 07060302
	v_readfirstlane_b32 s57, v32                               // 000000004318: 7E720520
	v_mov_b32_e32 v34, 0x3020706                               // 00000000431C: 7E4402FF 03020706
	v_mov_b32_e32 v32, s63                                     // 000000004324: 7E40023F
	v_and_b32_e32 v33, 1, v0                                   // 000000004328: 26420081
	v_cmp_eq_u32_e32 vcc, 1, v33                               // 00000000432C: 7D944281
	s_mov_b32 s67, 0x800                                       // 000000004330: BEC300FF 00000800
	v_cndmask_b32_e32 v17, v32, v34, vcc                       // 000000004338: 00224520
	s_cmp_lt_u32 s46, 2                                        // 00000000433C: BF0A822E
	s_cselect_b32 s24, s24, s28                                // 000000004340: 85181C18
	s_cselect_b32 s25, s25, s29                                // 000000004344: 85191D19
	s_cselect_b32 s26, s26, s30                                // 000000004348: 851A1E1A
	s_cselect_b32 s27, s27, s31                                // 00000000434C: 851B1F1B
	s_lshr_b32 s60, s46, 1                                     // 000000004350: 8F3C812E
	s_lshl_b32 s60, s60, 8                                     // 000000004354: 8E3C883C
	s_add_u32 s80, 0x9a00, s60                                 // 000000004358: 80503CFF 00009A00
	s_add_u32 s81, 0x200, s80                                  // 000000004360: 805150FF 00000200
	s_mov_b32 m0, s80                                          // 000000004368: BEFC0050
	s_mov_b32 s75, 0                                           // 00000000436C: BECB0080
	s_mov_b32 s76, 1                                           // 000000004370: BECC0081
	s_lshl_b32 s60, s2, 1                                      // 000000004374: 8E3C8102
	s_add_u32 s60, 1, s60                                      // 000000004378: 803C3C81
	s_cmp_ge_i32 s60, s77                                      // 00000000437C: BF034D3C
	s_cselect_b32 s76, s76, 2                                  // 000000004380: 854C824C

0000000000004384 <label_0161>:
	s_mov_b32 m0, s80                                          // 000000004384: BEFC0050
	s_mov_b32 s66, 0                                           // 000000004388: BEC20080
	v_mov_b32_e32 v178, 0xff800000                             // 00000000438C: 7F6402FF FF800000
	s_mov_b32 s74, 0                                           // 000000004394: BECA0080
	s_mul_i32 s68, 8, s5                                       // 000000004398: 92440588
	s_mul_i32 s100, 8, s51                                     // 00000000439C: 92643388
	s_mov_b32 s69, 32                                          // 0000000043A0: BEC500A0
	s_mul_i32 s59, 0xc0, s2                                    // 0000000043A4: 923B02FF 000000C0
	s_mul_i32 s54, s6, s59                                     // 0000000043AC: 92363B06
	s_sub_i32 s61, s87, s59                                    // 0000000043B0: 81BD3B57
	s_mul_i32 s62, s6, s61                                     // 0000000043B4: 923E3D06
	s_lshr_b32 s62, s62, 2                                     // 0000000043B8: 8F3E823E
	s_mov_b32 s14, s62                                         // 0000000043BC: BE8E003E
	s_add_u32 s12, s54, s94                                    // 0000000043C0: 800C5E36
	s_addc_u32 s13, 0, s95                                     // 0000000043C4: 820D5F80
	s_mul_i32 s54, s7, s59                                     // 0000000043C8: 92363B07
	s_mul_i32 s62, s7, s61                                     // 0000000043CC: 923E3D07
	s_lshr_b32 s62, s62, 2                                     // 0000000043D0: 8F3E823E
	s_mov_b32 s18, s62                                         // 0000000043D4: BE92003E
	s_add_u32 s16, s54, s96                                    // 0000000043D8: 80106036
	s_addc_u32 s17, 0, s97                                     // 0000000043DC: 82116180
	s_mov_b32 s71, s6                                          // 0000000043E0: BEC70006
	v_lshrrev_b32_e32 v32, 4, v0                               // 0000000043E4: 20400084
	v_and_b32_e32 v33, 1, v32                                  // 0000000043E8: 26424081
	v_lshlrev_b32_e32 v33, 1, v33                              // 0000000043EC: 24424281
	v_mul_i32_i24_e32 v33, s71, v33                            // 0000000043F0: 0C424247
	v_and_b32_e32 v34, 2, v32                                  // 0000000043F4: 26444082
	v_lshlrev_b32_e32 v34, 5, v34                              // 0000000043F8: 24444485
	v_add_u32_e32 v33, v34, v33                                // 0000000043FC: 68424322
	v_and_b32_e32 v32, 15, v0                                  // 000000004400: 2640008F
	v_lshlrev_b32_e32 v32, 2, v32                              // 000000004404: 24404082
	v_add_u32_e32 v1, v32, v33                                 // 000000004408: 68024320
	s_mul_i32 s60, s46, s71                                    // 00000000440C: 923C472E
	s_mul_i32 s60, s60, 4                                      // 000000004410: 923C843C
	v_add_u32_e32 v1, s60, v1                                  // 000000004414: 6802023C
	v_add_u32_e32 v2, s71, v1                                  // 000000004418: 68040247
	s_mul_i32 s60, 16, s71                                     // 00000000441C: 923C4790
	v_add_u32_e32 v3, s60, v1                                  // 000000004420: 6806023C
	v_add_u32_e32 v4, s60, v2                                  // 000000004424: 6808043C
	s_mov_b32 s71, s7                                          // 000000004428: BEC70007
	v_lshrrev_b32_e32 v32, 4, v0                               // 00000000442C: 20400084
	v_and_b32_e32 v33, 1, v32                                  // 000000004430: 26424081
	v_lshlrev_b32_e32 v33, 1, v33                              // 000000004434: 24424281
	v_mul_i32_i24_e32 v33, s71, v33                            // 000000004438: 0C424247
	v_and_b32_e32 v34, 2, v32                                  // 00000000443C: 26444082
	v_lshlrev_b32_e32 v34, 5, v34                              // 000000004440: 24444485
	v_add_u32_e32 v33, v34, v33                                // 000000004444: 68424322
	v_and_b32_e32 v32, 15, v0                                  // 000000004448: 2640008F
	v_lshlrev_b32_e32 v32, 2, v32                              // 00000000444C: 24404082
	v_add_u32_e32 v232, v32, v33                               // 000000004450: 69D04320
	s_mul_i32 s60, s46, s71                                    // 000000004454: 923C472E
	s_mul_i32 s60, s60, 4                                      // 000000004458: 923C843C
	v_add_u32_e32 v232, s60, v232                              // 00000000445C: 69D1D03C
	v_add_u32_e32 v233, s71, v232                              // 000000004460: 69D3D047
	s_mul_i32 s60, 16, s71                                     // 000000004464: 923C4790
	v_add_u32_e32 v234, s60, v232                              // 000000004468: 69D5D03C
	v_add_u32_e32 v235, s60, v233                              // 00000000446C: 69D7D23C
	v_lshrrev_b32_e32 v1, 2, v1                                // 000000004470: 20020282
	v_lshrrev_b32_e32 v2, 2, v2                                // 000000004474: 20040482
	v_lshrrev_b32_e32 v232, 2, v232                            // 000000004478: 21D1D082
	v_lshrrev_b32_e32 v233, 2, v233                            // 00000000447C: 21D3D282
	s_mov_b32 s70, s52                                         // 000000004480: BEC60034
	v_lshrrev_b32_e32 v32, 3, v0                               // 000000004484: 20400083
	v_mul_i32_i24_e32 v5, s70, v32                             // 000000004488: 0C0A4046
	v_lshrrev_b32_e32 v5, 2, v5                                // 00000000448C: 200A0A82
	v_and_b32_e32 v32, 7, v0                                   // 000000004490: 26400087
	v_lshlrev_b32_e32 v33, 2, v32                              // 000000004494: 24424082
	v_add_u32_e32 v5, v33, v5                                  // 000000004498: 680A0B21
	s_mul_i32 s60, 16, s70                                     // 00000000449C: 923C4690
	s_mul_i32 s60, s46, s60                                    // 0000000044A0: 923C3C2E
	v_lshlrev_b32_e32 v5, 2, v5                                // 0000000044A4: 240A0A82
	v_add_u32_e32 v5, s60, v5                                  // 0000000044A8: 680A0A3C
	s_mul_i32 s60, s52, s59                                    // 0000000044AC: 923C3B34
	v_add_u32_e32 v5, s60, v5                                  // 0000000044B0: 680A0A3C
	v_lshrrev_b32_e32 v5, 2, v5                                // 0000000044B4: 200A0A82
	s_mov_b32 s70, s53                                         // 0000000044B8: BEC60035
	v_lshrrev_b32_e32 v32, 3, v0                               // 0000000044BC: 20400083
	v_mul_i32_i24_e32 v10, s70, v32                            // 0000000044C0: 0C144046
	v_lshrrev_b32_e32 v10, 2, v10                              // 0000000044C4: 20141482
	v_and_b32_e32 v32, 7, v0                                   // 0000000044C8: 26400087
	v_lshlrev_b32_e32 v33, 2, v32                              // 0000000044CC: 24424082
	v_add_u32_e32 v10, v33, v10                                // 0000000044D0: 68141521
	s_mul_i32 s60, 16, s70                                     // 0000000044D4: 923C4690
	s_mul_i32 s60, s46, s60                                    // 0000000044D8: 923C3C2E
	v_lshlrev_b32_e32 v10, 2, v10                              // 0000000044DC: 24141482
	v_add_u32_e32 v10, s60, v10                                // 0000000044E0: 6814143C
	s_mul_i32 s60, s53, s59                                    // 0000000044E4: 923C3B35
	v_add_u32_e32 v10, s60, v10                                // 0000000044E8: 6814143C
	v_lshrrev_b32_e32 v10, 2, v10                              // 0000000044EC: 20141482
	s_cmp_ge_i32 s59, s85                                      // 0000000044F0: BF03553B
	s_cselect_b32 s59, s85, s59                                // 0000000044F4: 853B3B55
	s_add_u32 s73, 32, s59                                     // 0000000044F8: 80493BA0
	s_mul_i32 s55, s5, s59                                     // 0000000044FC: 92373B05
	s_sub_i32 s61, s85, s59                                    // 000000004500: 81BD3B55
	s_mul_i32 s62, s5, s61                                     // 000000004504: 923E3D05
	s_lshr_b32 s62, s62, 2                                     // 000000004508: 8F3E823E
	s_mov_b32 s10, s62                                         // 00000000450C: BE8A003E
	s_add_u32 s8, s55, s90                                     // 000000004510: 80085A37
	s_addc_u32 s9, 0, s91                                      // 000000004514: 82095B80
	s_mul_i32 s56, s51, s59                                    // 000000004518: 92383B33
	s_mul_i32 s62, s51, s61                                    // 00000000451C: 923E3D33
	s_lshr_b32 s62, s62, 2                                     // 000000004520: 8F3E823E
	s_mov_b32 s22, s62                                         // 000000004524: BE96003E
	s_add_u32 s20, s56, s98                                    // 000000004528: 80146238
	s_addc_u32 s21, 0, s99                                     // 00000000452C: 82156380
	s_mul_i32 s65, s59, 4                                      // 000000004530: 9241843B
	v_and_b32_e32 v11, 31, v0                                  // 000000004534: 2616009F
	v_lshlrev_b32_e32 v11, 2, v11                              // 000000004538: 24161682
	v_add_u32_e32 v11, s65, v11                                // 00000000453C: 68161641
	v_lshrrev_b32_e32 v11, 2, v11                              // 000000004540: 20161682
	v_lshrrev_b32_e32 v32, 5, v0                               // 000000004544: 20400085
	v_mul_i32_i24_e32 v6, 0x80, v32                            // 000000004548: 0C0C40FF 00000080
	v_and_b32_e32 v32, 31, v0                                  // 000000004550: 2640009F
	v_add_u32_e32 v6, v32, v6                                  // 000000004554: 680C0D20
	s_mul_i32 s60, s46, 0x100                                  // 000000004558: 923CFF2E 00000100
	v_add_u32_e32 v6, s60, v6                                  // 000000004560: 680C0C3C
	v_lshlrev_b32_e32 v6, 2, v6                                // 000000004564: 240C0C82
	v_add_u32_e32 v7, 0x100, v6                                // 000000004568: 680E0CFF 00000100
	v_add_u32_e32 v8, 0x1000, v6                               // 000000004570: 68100CFF 00001000
	v_add_u32_e32 v9, 0x1000, v7                               // 000000004578: 68120EFF 00001000
	s_mul_i32 s60, 64, s65                                     // 000000004580: 923C41C0
	v_add_u32_e32 v6, s60, v6                                  // 000000004584: 680C0C3C
	v_lshrrev_b32_e32 v6, 2, v6                                // 000000004588: 200C0C82
	v_add_u32_e32 v7, s60, v7                                  // 00000000458C: 680E0E3C
	v_lshrrev_b32_e32 v7, 2, v7                                // 000000004590: 200E0E82
	v_add_u32_e32 v8, s60, v8                                  // 000000004594: 6810103C
	v_lshrrev_b32_e32 v8, 2, v8                                // 000000004598: 20101082
	v_add_u32_e32 v9, s60, v9                                  // 00000000459C: 6812123C
	v_lshrrev_b32_e32 v9, 2, v9                                // 0000000045A0: 20121282
	s_mul_i32 s60, 3, s2                                       // 0000000045A4: 923C0283
	s_add_u32 s61, s87, 63                                     // 0000000045A8: 803DBF57
	s_lshr_b32 s61, s61, 6                                     // 0000000045AC: 8F3D863D
	s_sub_i32 s72, s61, s60                                    // 0000000045B0: 81C83C3D
	s_cmp_lt_i32 s72, 3                                        // 0000000045B4: BF048348
	s_cselect_b32 s72, s72, 3                                  // 0000000045B8: 85488348
	s_mul_i32 s60, 0xc0, s2                                    // 0000000045BC: 923C02FF 000000C0
	s_sub_i32 s84, s87, s60                                    // 0000000045C4: 81D43C57
	v_and_b32_e32 v32, 31, v0                                  // 0000000045C8: 2640009F
	v_lshrrev_b32_e32 v32, 1, v32                              // 0000000045CC: 20404081
	v_and_b32_e32 v33, 1, v32                                  // 0000000045D0: 26424081
	v_lshlrev_b32_e32 v33, 4, v33                              // 0000000045D4: 24424284
	v_and_b32_e32 v34, 2, v32                                  // 0000000045D8: 26444082
	v_lshlrev_b32_e32 v34, 2, v34                              // 0000000045DC: 24444482
	v_add_u32_e32 v33, v34, v33                                // 0000000045E0: 68424322
	v_and_b32_e32 v34, 12, v32                                 // 0000000045E4: 2644408C
	v_lshrrev_b32_e32 v34, 1, v34                              // 0000000045E8: 20444481
	v_add_u32_e32 v33, v34, v33                                // 0000000045EC: 68424322
	v_lshrrev_b32_e32 v32, 5, v0                               // 0000000045F0: 20400085
	v_mul_i32_i24_e32 v34, 0x80, v32                           // 0000000045F4: 0C4440FF 00000080
	v_add_u32_e32 v33, v34, v33                                // 0000000045FC: 68424322
	v_and_b32_e32 v34, 1, v0                                   // 000000004600: 26440081
	v_add_u32_e32 v13, v34, v33                                // 000000004604: 681A4322
	s_mul_i32 s60, s46, 32                                     // 000000004608: 923CA02E
	v_add_u32_e32 v13, s60, v13                                // 00000000460C: 681A1A3C
	v_lshlrev_b32_e32 v13, 2, v13                              // 000000004610: 241A1A82
	v_lshrrev_b32_e32 v32, 4, v0                               // 000000004614: 20400084
	v_and_b32_e32 v33, 1, v32                                  // 000000004618: 26424081
	v_lshlrev_b32_e32 v33, 4, v33                              // 00000000461C: 24424284
	v_and_b32_e32 v34, 2, v32                                  // 000000004620: 26444082
	v_mul_i32_i24_e32 v34, 4, v34                              // 000000004624: 0C444484
	v_add_u32_e32 v33, v34, v33                                // 000000004628: 68424322
	v_and_b32_e32 v32, 15, v0                                  // 00000000462C: 2640008F
	v_lshrrev_b32_e32 v34, 2, v32                              // 000000004630: 20444082
	v_lshlrev_b32_e32 v34, 5, v34                              // 000000004634: 24444485
	v_add_u32_e32 v33, v34, v33                                // 000000004638: 68424322
	v_and_b32_e32 v32, 3, v0                                   // 00000000463C: 26400083
	v_and_b32_e32 v34, 1, v32                                  // 000000004640: 26444081
	v_mul_i32_i24_e32 v34, 0x108, v34                          // 000000004644: 0C4444FF 00000108
	v_add_u32_e32 v33, v34, v33                                // 00000000464C: 68424322
	v_and_b32_e32 v34, 2, v32                                  // 000000004650: 26444082
	v_lshlrev_b32_e32 v34, 1, v34                              // 000000004654: 24444481
	v_add_u32_e32 v12, v34, v33                                // 000000004658: 68184322
	v_lshlrev_b32_e32 v12, 2, v12                              // 00000000465C: 24181882
	s_mul_i32 s60, s46, 0x880                                  // 000000004660: 923CFF2E 00000880
	v_add_u32_e32 v24, s60, v12                                // 000000004668: 6830183C
	v_lshrrev_b32_e32 v32, 5, v0                               // 00000000466C: 20400085
	v_mul_i32_i24_e32 v15, 0x80, v32                           // 000000004670: 0C1E40FF 00000080
	v_and_b32_e32 v32, 31, v0                                  // 000000004678: 2640009F
	v_and_b32_e32 v33, 7, v32                                  // 00000000467C: 26424087
	v_and_b32_e32 v34, 1, v33                                  // 000000004680: 26444281
	v_lshlrev_b32_e32 v34, 2, v34                              // 000000004684: 24444482
	v_add_u32_e32 v15, v34, v15                                // 000000004688: 681E1F22
	v_and_b32_e32 v34, 2, v33                                  // 00000000468C: 26444282
	v_lshlrev_b32_e32 v34, 3, v34                              // 000000004690: 24444483
	v_add_u32_e32 v15, v34, v15                                // 000000004694: 681E1F22
	v_and_b32_e32 v34, 4, v33                                  // 000000004698: 26444284
	v_lshlrev_b32_e32 v34, 1, v34                              // 00000000469C: 24444481
	v_add_u32_e32 v15, v34, v15                                // 0000000046A0: 681E1F22
	v_lshrrev_b32_e32 v33, 3, v32                              // 0000000046A4: 20424083
	v_and_b32_e32 v34, 1, v33                                  // 0000000046A8: 26444281
	v_lshlrev_b32_e32 v34, 1, v34                              // 0000000046AC: 24444481
	v_add_u32_e32 v15, v34, v15                                // 0000000046B0: 681E1F22
	v_and_b32_e32 v34, 2, v33                                  // 0000000046B4: 26444282
	v_lshrrev_b32_e32 v34, 1, v34                              // 0000000046B8: 20444481
	v_add_u32_e32 v15, v34, v15                                // 0000000046BC: 681E1F22
	s_mul_i32 s60, s46, 32                                     // 0000000046C0: 923CA02E
	v_add_u32_e32 v15, s60, v15                                // 0000000046C4: 681E1E3C
	v_lshlrev_b32_e32 v15, 2, v15                              // 0000000046C8: 241E1E82
	v_and_b32_e32 v32, 15, v0                                  // 0000000046CC: 2640008F
	v_and_b32_e32 v34, 1, v32                                  // 0000000046D0: 26444081
	v_mul_i32_i24_e32 v14, 0x108, v34                          // 0000000046D4: 0C1C44FF 00000108
	v_and_b32_e32 v34, 2, v32                                  // 0000000046DC: 26444082
	v_lshlrev_b32_e32 v34, 1, v34                              // 0000000046E0: 24444481
	v_add_u32_e32 v14, v34, v14                                // 0000000046E4: 681C1D22
	v_and_b32_e32 v34, 4, v32                                  // 0000000046E8: 26444084
	v_lshlrev_b32_e32 v34, 2, v34                              // 0000000046EC: 24444482
	v_add_u32_e32 v14, v34, v14                                // 0000000046F0: 681C1D22
	v_and_b32_e32 v34, 8, v32                                  // 0000000046F4: 26444088
	v_add_u32_e32 v14, v34, v14                                // 0000000046F8: 681C1D22
	v_lshrrev_b32_e32 v32, 4, v0                               // 0000000046FC: 20400084
	v_and_b32_e32 v34, 1, v32                                  // 000000004700: 26444081
	v_lshlrev_b32_e32 v34, 5, v34                              // 000000004704: 24444485
	v_add_u32_e32 v14, v34, v14                                // 000000004708: 681C1D22
	v_and_b32_e32 v33, 2, v32                                  // 00000000470C: 26424082
	v_mul_i32_i24_e32 v34, 32, v33                             // 000000004710: 0C4442A0
	v_mul_i32_i24_e32 v33, 0x110, v33                          // 000000004714: 0C4242FF 00000110
	v_add_u32_e32 v25, v33, v14                                // 00000000471C: 68321D21
	v_add_u32_e32 v14, v34, v14                                // 000000004720: 681C1D22
	v_lshlrev_b32_e32 v14, 2, v14                              // 000000004724: 241C1C82
	v_lshlrev_b32_e32 v25, 2, v25                              // 000000004728: 24323282
	s_and_b32 s60, 1, s46                                      // 00000000472C: 863C2E81
	s_mul_i32 s60, s60, 0x200                                  // 000000004730: 923CFF3C 00000200
	v_add_u32_e32 v25, s60, v25                                // 000000004738: 6832323C
	v_lshrrev_b32_e32 v32, 4, v0                               // 00000000473C: 20400084
	v_mul_i32_i24_e32 v23, 4, v32                              // 000000004740: 0C2E4084
	v_and_b32_e32 v33, 3, v0                                   // 000000004744: 26420083
	v_add_u32_e32 v23, v33, v23                                // 000000004748: 682E2F21
	v_lshlrev_b32_e32 v23, 2, v23                              // 00000000474C: 242E2E82
	v_lshrrev_b32_e32 v32, 4, v0                               // 000000004750: 20400084
	v_and_b32_e32 v33, 1, v32                                  // 000000004754: 26424081
	v_mul_i32_i24_e32 v21, 0x100, v33                          // 000000004758: 0C2A42FF 00000100
	v_and_b32_e32 v33, 2, v32                                  // 000000004760: 26424082
	v_mul_i32_i24_e32 v33, 64, v33                             // 000000004764: 0C4242C0
	v_add_u32_e32 v21, v33, v21                                // 000000004768: 682A2B21
	v_and_b32_e32 v32, 15, v0                                  // 00000000476C: 2640008F
	v_mul_i32_i24_e32 v33, 2, v32                              // 000000004770: 0C424082
	v_add_u32_e32 v21, v33, v21                                // 000000004774: 682A2B21
	s_mul_i32 s60, s46, 32                                     // 000000004778: 923CA02E
	v_add_u32_e32 v21, s60, v21                                // 00000000477C: 682A2A3C
	v_lshlrev_b32_e32 v21, 2, v21                              // 000000004780: 242A2A82
	v_lshlrev_b32_e32 v22, 1, v0                               // 000000004784: 242C0081
	s_mul_i32 s60, s46, 0x200                                  // 000000004788: 923CFF2E 00000200
	v_add_u32_e32 v22, s60, v22                                // 000000004790: 682C2C3C
	v_lshlrev_b32_e32 v22, 2, v22                              // 000000004794: 242C2C82
	v_lshrrev_b32_e32 v32, 5, v0                               // 000000004798: 20400085
	v_mul_i32_i24_e32 v19, 64, v32                             // 00000000479C: 0C2640C0
	v_and_b32_e32 v32, 31, v0                                  // 0000000047A0: 2640009F
	v_and_b32_e32 v32, 3, v32                                  // 0000000047A4: 26404083
	v_and_b32_e32 v33, 1, v32                                  // 0000000047A8: 26424081
	v_mul_i32_i24_e32 v33, 4, v33                              // 0000000047AC: 0C424284
	v_add_u32_e32 v19, v33, v19                                // 0000000047B0: 68262721
	v_and_b32_e32 v33, 2, v32                                  // 0000000047B4: 26424082
	v_mul_i32_i24_e32 v33, 0x44, v33                           // 0000000047B8: 0C4242FF 00000044
	v_add_u32_e32 v19, v33, v19                                // 0000000047C0: 68262721
	v_and_b32_e32 v32, 31, v0                                  // 0000000047C4: 2640009F
	v_lshrrev_b32_e32 v32, 2, v32                              // 0000000047C8: 20404082
	v_lshrrev_b32_e32 v34, 2, v32                              // 0000000047CC: 20444082
	v_mul_i32_i24_e32 v33, 16, v34                             // 0000000047D0: 0C424490
	v_add_u32_e32 v19, v33, v19                                // 0000000047D4: 68262721
	v_and_b32_e32 v33, 2, v32                                  // 0000000047D8: 26424082
	v_lshlrev_b32_e32 v33, 4, v33                              // 0000000047DC: 24424284
	v_add_u32_e32 v19, v33, v19                                // 0000000047E0: 68262721
	v_and_b32_e32 v33, 1, v32                                  // 0000000047E4: 26424081
	v_xor_b32_e32 v33, v34, v33                                // 0000000047E8: 2A424322
	v_mul_i32_i24_e32 v33, 8, v33                              // 0000000047EC: 0C424288
	v_add_u32_e32 v19, v33, v19                                // 0000000047F0: 68262721
	s_lshr_b32 s60, s46, 1                                     // 0000000047F4: 8F3C812E
	s_mul_i32 s60, s60, 0x6c0                                  // 0000000047F8: 923CFF3C 000006C0
	v_add_u32_e32 v19, s60, v19                                // 000000004800: 6826263C
	v_lshlrev_b32_e32 v19, 2, v19                              // 000000004804: 24262682
	v_lshrrev_b32_e32 v32, 5, v0                               // 000000004808: 20400085
	v_mul_i32_i24_e32 v20, 32, v32                             // 00000000480C: 0C2840A0
	v_and_b32_e32 v32, 31, v0                                  // 000000004810: 2640009F
	v_and_b32_e32 v32, 3, v32                                  // 000000004814: 26404083
	v_and_b32_e32 v33, 1, v32                                  // 000000004818: 26424081
	v_mul_i32_i24_e32 v33, 4, v33                              // 00000000481C: 0C424284
	v_add_u32_e32 v20, v33, v20                                // 000000004820: 68282921
	v_and_b32_e32 v33, 2, v32                                  // 000000004824: 26424082
	v_lshrrev_b32_e32 v33, 1, v33                              // 000000004828: 20424281
	v_add_u32_e32 v20, v33, v20                                // 00000000482C: 68282921
	v_and_b32_e32 v32, 31, v0                                  // 000000004830: 2640009F
	v_lshrrev_b32_e32 v32, 2, v32                              // 000000004834: 20404082
	v_and_b32_e32 v34, 1, v32                                  // 000000004838: 26444081
	v_mul_i32_i24_e32 v33, 16, v34                             // 00000000483C: 0C424490
	v_add_u32_e32 v20, v33, v20                                // 000000004840: 68282921
	v_and_b32_e32 v33, 2, v32                                  // 000000004844: 26424082
	v_add_u32_e32 v20, v33, v20                                // 000000004848: 68282921
	v_lshrrev_b32_e32 v33, 2, v32                              // 00000000484C: 20424082
	v_xor_b32_e32 v33, v34, v33                                // 000000004850: 2A424322
	v_mul_i32_i24_e32 v33, 8, v33                              // 000000004854: 0C424288
	v_add_u32_e32 v20, v33, v20                                // 000000004858: 68282921
	s_and_b32 s60, 1, s46                                      // 00000000485C: 863C2E81
	s_mul_i32 s60, s60, 64                                     // 000000004860: 923CC03C
	s_lshr_b32 s61, s46, 1                                     // 000000004864: 8F3D812E
	s_mul_i32 s61, s61, 0x120                                  // 000000004868: 923DFF3D 00000120
	s_add_u32 s60, s60, s61                                    // 000000004870: 803C3D3C
	v_add_u32_e32 v20, s60, v20                                // 000000004874: 6828283C
	v_lshlrev_b32_e32 v20, 2, v20                              // 000000004878: 24282882
	buffer_load_dword v180, v1, s[12:15], 0 idxen              // 00000000487C: E0502000 8003B401
	buffer_load_dword v181, v2, s[12:15], 0 idxen              // 000000004884: E0502000 8003B502
	s_mul_i32 s60, 4, s6                                       // 00000000488C: 923C0684
	s_cmp_lt_i32 0, s72                                        // 000000004890: BF044880
	s_cselect_b32 s60, s60, 0                                  // 000000004894: 853C803C
	v_add_u32_e32 v1, s60, v1                                  // 000000004898: 6802023C
	v_add_u32_e32 v2, s60, v2                                  // 00000000489C: 6804043C
	buffer_load_dword v182, v1, s[12:15], 0 idxen              // 0000000048A0: E0502000 8003B601
	buffer_load_dword v183, v2, s[12:15], 0 idxen              // 0000000048A8: E0502000 8003B702
	s_mul_i32 s60, 4, s6                                       // 0000000048B0: 923C0684
	s_cmp_lt_i32 0, s72                                        // 0000000048B4: BF044880
	s_cselect_b32 s60, s60, 0                                  // 0000000048B8: 853C803C
	v_add_u32_e32 v1, s60, v1                                  // 0000000048BC: 6802023C
	v_add_u32_e32 v2, s60, v2                                  // 0000000048C0: 6804043C
	buffer_load_dword v184, v1, s[12:15], 0 idxen              // 0000000048C4: E0502000 8003B801
	buffer_load_dword v185, v2, s[12:15], 0 idxen              // 0000000048CC: E0502000 8003B902
	s_mul_i32 s60, 4, s6                                       // 0000000048D4: 923C0684
	s_cmp_lt_i32 0, s72                                        // 0000000048D8: BF044880
	s_cselect_b32 s60, s60, 0                                  // 0000000048DC: 853C803C
	v_add_u32_e32 v1, s60, v1                                  // 0000000048E0: 6802023C
	v_add_u32_e32 v2, s60, v2                                  // 0000000048E4: 6804043C
	buffer_load_dword v186, v1, s[12:15], 0 idxen              // 0000000048E8: E0502000 8003BA01
	buffer_load_dword v187, v2, s[12:15], 0 idxen              // 0000000048F0: E0502000 8003BB02
	s_mul_i32 s60, 4, s6                                       // 0000000048F8: 923C0684
	s_cmp_lt_i32 1, s72                                        // 0000000048FC: BF044881
	s_cselect_b32 s60, s60, 0                                  // 000000004900: 853C803C
	v_add_u32_e32 v1, s60, v1                                  // 000000004904: 6802023C
	v_add_u32_e32 v2, s60, v2                                  // 000000004908: 6804043C
	buffer_load_dword v188, v1, s[12:15], 0 idxen              // 00000000490C: E0502000 8003BC01
	buffer_load_dword v189, v2, s[12:15], 0 idxen              // 000000004914: E0502000 8003BD02
	s_mul_i32 s60, 4, s6                                       // 00000000491C: 923C0684
	s_cmp_lt_i32 1, s72                                        // 000000004920: BF044881
	s_cselect_b32 s60, s60, 0                                  // 000000004924: 853C803C
	v_add_u32_e32 v1, s60, v1                                  // 000000004928: 6802023C
	v_add_u32_e32 v2, s60, v2                                  // 00000000492C: 6804043C
	buffer_load_dword v190, v1, s[12:15], 0 idxen              // 000000004930: E0502000 8003BE01
	buffer_load_dword v191, v2, s[12:15], 0 idxen              // 000000004938: E0502000 8003BF02
	s_mul_i32 s60, 4, s6                                       // 000000004940: 923C0684
	s_cmp_lt_i32 1, s72                                        // 000000004944: BF044881
	s_cselect_b32 s60, s60, 0                                  // 000000004948: 853C803C
	v_add_u32_e32 v1, s60, v1                                  // 00000000494C: 6802023C
	v_add_u32_e32 v2, s60, v2                                  // 000000004950: 6804043C
	buffer_load_dword v192, v1, s[12:15], 0 idxen              // 000000004954: E0502000 8003C001
	buffer_load_dword v193, v2, s[12:15], 0 idxen              // 00000000495C: E0502000 8003C102
	s_mul_i32 s60, 4, s6                                       // 000000004964: 923C0684
	s_cmp_lt_i32 1, s72                                        // 000000004968: BF044881
	s_cselect_b32 s60, s60, 0                                  // 00000000496C: 853C803C
	v_add_u32_e32 v1, s60, v1                                  // 000000004970: 6802023C
	v_add_u32_e32 v2, s60, v2                                  // 000000004974: 6804043C
	buffer_load_dword v194, v1, s[12:15], 0 idxen              // 000000004978: E0502000 8003C201
	buffer_load_dword v195, v2, s[12:15], 0 idxen              // 000000004980: E0502000 8003C302
	s_mul_i32 s60, 4, s6                                       // 000000004988: 923C0684
	s_cmp_lt_i32 2, s72                                        // 00000000498C: BF044882
	s_cselect_b32 s60, s60, 0                                  // 000000004990: 853C803C
	v_add_u32_e32 v1, s60, v1                                  // 000000004994: 6802023C
	v_add_u32_e32 v2, s60, v2                                  // 000000004998: 6804043C
	buffer_load_dword v196, v1, s[12:15], 0 idxen              // 00000000499C: E0502000 8003C401
	buffer_load_dword v197, v2, s[12:15], 0 idxen              // 0000000049A4: E0502000 8003C502
	s_mul_i32 s60, 4, s6                                       // 0000000049AC: 923C0684
	s_cmp_lt_i32 2, s72                                        // 0000000049B0: BF044882
	s_cselect_b32 s60, s60, 0                                  // 0000000049B4: 853C803C
	v_add_u32_e32 v1, s60, v1                                  // 0000000049B8: 6802023C
	v_add_u32_e32 v2, s60, v2                                  // 0000000049BC: 6804043C
	buffer_load_dword v198, v1, s[12:15], 0 idxen              // 0000000049C0: E0502000 8003C601
	buffer_load_dword v199, v2, s[12:15], 0 idxen              // 0000000049C8: E0502000 8003C702
	s_mul_i32 s60, 4, s6                                       // 0000000049D0: 923C0684
	s_cmp_lt_i32 2, s72                                        // 0000000049D4: BF044882
	s_cselect_b32 s60, s60, 0                                  // 0000000049D8: 853C803C
	v_add_u32_e32 v1, s60, v1                                  // 0000000049DC: 6802023C
	v_add_u32_e32 v2, s60, v2                                  // 0000000049E0: 6804043C
	buffer_load_dword v200, v1, s[12:15], 0 idxen              // 0000000049E4: E0502000 8003C801
	buffer_load_dword v201, v2, s[12:15], 0 idxen              // 0000000049EC: E0502000 8003C902
	s_mul_i32 s60, 4, s6                                       // 0000000049F4: 923C0684
	s_cmp_lt_i32 2, s72                                        // 0000000049F8: BF044882
	s_cselect_b32 s60, s60, 0                                  // 0000000049FC: 853C803C
	v_add_u32_e32 v1, s60, v1                                  // 000000004A00: 6802023C
	v_add_u32_e32 v2, s60, v2                                  // 000000004A04: 6804043C
	buffer_load_dword v202, v1, s[12:15], 0 idxen              // 000000004A08: E0502000 8003CA01
	buffer_load_dword v203, v2, s[12:15], 0 idxen              // 000000004A10: E0502000 8003CB02
	s_mul_i32 s60, 4, s6                                       // 000000004A18: 923C0684
	s_cmp_lt_i32 3, s72                                        // 000000004A1C: BF044883
	s_cselect_b32 s60, s60, 0                                  // 000000004A20: 853C803C
	v_add_u32_e32 v1, s60, v1                                  // 000000004A24: 6802023C
	v_add_u32_e32 v2, s60, v2                                  // 000000004A28: 6804043C
	s_waitcnt vmcnt(16) lgkmcnt(0)                             // 000000004A2C: BF8C4070
	s_barrier                                                  // 000000004A30: BF8A0000
	s_cmp_lt_i32 0, s72                                        // 000000004A34: BF044880
	s_cbranch_scc1 label_0317                                  // 000000004A38: BF850008
	v_mov_b32_e32 v180, 0                                      // 000000004A3C: 7F680280
	v_mov_b32_e32 v181, 0                                      // 000000004A40: 7F6A0280
	v_mov_b32_e32 v182, 0                                      // 000000004A44: 7F6C0280
	v_mov_b32_e32 v183, 0                                      // 000000004A48: 7F6E0280
	v_mov_b32_e32 v184, 0                                      // 000000004A4C: 7F700280
	v_mov_b32_e32 v185, 0                                      // 000000004A50: 7F720280
	v_mov_b32_e32 v186, 0                                      // 000000004A54: 7F740280
	v_mov_b32_e32 v187, 0                                      // 000000004A58: 7F760280

0000000000004a5c <label_0317>:
	v_perm_b32 v204, v181, v180, s63                           // 000000004A5C: D1ED00CC 00FF69B5
	v_perm_b32 v205, v181, v180, s64                           // 000000004A64: D1ED00CD 010369B5
	v_perm_b32 v206, v183, v182, s63                           // 000000004A6C: D1ED00CE 00FF6DB7
	v_perm_b32 v207, v183, v182, s64                           // 000000004A74: D1ED00CF 01036DB7
	v_perm_b32 v208, v185, v184, s63                           // 000000004A7C: D1ED00D0 00FF71B9
	v_perm_b32 v209, v185, v184, s64                           // 000000004A84: D1ED00D1 010371B9
	v_perm_b32 v210, v187, v186, s63                           // 000000004A8C: D1ED00D2 00FF75BB
	v_perm_b32 v211, v187, v186, s64                           // 000000004A94: D1ED00D3 010375BB
	ds_write_b32 v15, v204 offset:8704                         // 000000004A9C: D81A2200 0000CC0F
	ds_write_b32 v15, v205 offset:9760                         // 000000004AA4: D81A2620 0000CD0F
	ds_write_b32 v15, v206 offset:10880                        // 000000004AAC: D81A2A80 0000CE0F
	ds_write_b32 v15, v207 offset:11936                        // 000000004AB4: D81A2EA0 0000CF0F
	ds_write_b32 v15, v208 offset:13056                        // 000000004ABC: D81A3300 0000D00F
	ds_write_b32 v15, v209 offset:14112                        // 000000004AC4: D81A3720 0000D10F
	ds_write_b32 v15, v210 offset:15232                        // 000000004ACC: D81A3B80 0000D20F
	ds_write_b32 v15, v211 offset:16288                        // 000000004AD4: D81A3FA0 0000D30F
	ds_write_b32 v13, v180                                     // 000000004ADC: D81A0000 0000B40D
	ds_write_b32 v13, v181 offset:1056                         // 000000004AE4: D81A0420 0000B50D
	ds_write_b32 v13, v182 offset:2176                         // 000000004AEC: D81A0880 0000B60D
	ds_write_b32 v13, v183 offset:3232                         // 000000004AF4: D81A0CA0 0000B70D
	ds_write_b32 v13, v184 offset:4352                         // 000000004AFC: D81A1100 0000B80D
	ds_write_b32 v13, v185 offset:5408                         // 000000004B04: D81A1520 0000B90D
	ds_write_b32 v13, v186 offset:6528                         // 000000004B0C: D81A1980 0000BA0D
	ds_write_b32 v13, v187 offset:7584                         // 000000004B14: D81A1DA0 0000BB0D
	buffer_load_dword v180, v232, s[16:19], 0 idxen            // 000000004B1C: E0502000 8004B4E8
	buffer_load_dword v181, v233, s[16:19], 0 idxen            // 000000004B24: E0502000 8004B5E9
	s_mul_i32 s60, 4, s7                                       // 000000004B2C: 923C0784
	s_cmp_lt_i32 0, s72                                        // 000000004B30: BF044880
	s_cselect_b32 s60, s60, 0                                  // 000000004B34: 853C803C
	v_add_u32_e32 v232, s60, v232                              // 000000004B38: 69D1D03C
	v_add_u32_e32 v233, s60, v233                              // 000000004B3C: 69D3D23C
	buffer_load_dword v182, v232, s[16:19], 0 idxen            // 000000004B40: E0502000 8004B6E8
	buffer_load_dword v183, v233, s[16:19], 0 idxen            // 000000004B48: E0502000 8004B7E9
	s_mul_i32 s60, 4, s7                                       // 000000004B50: 923C0784
	s_cmp_lt_i32 0, s72                                        // 000000004B54: BF044880
	s_cselect_b32 s60, s60, 0                                  // 000000004B58: 853C803C
	v_add_u32_e32 v232, s60, v232                              // 000000004B5C: 69D1D03C
	v_add_u32_e32 v233, s60, v233                              // 000000004B60: 69D3D23C
	buffer_load_dword v184, v232, s[16:19], 0 idxen            // 000000004B64: E0502000 8004B8E8
	buffer_load_dword v185, v233, s[16:19], 0 idxen            // 000000004B6C: E0502000 8004B9E9
	s_mul_i32 s60, 4, s7                                       // 000000004B74: 923C0784
	s_cmp_lt_i32 0, s72                                        // 000000004B78: BF044880
	s_cselect_b32 s60, s60, 0                                  // 000000004B7C: 853C803C
	v_add_u32_e32 v232, s60, v232                              // 000000004B80: 69D1D03C
	v_add_u32_e32 v233, s60, v233                              // 000000004B84: 69D3D23C
	buffer_load_dword v186, v232, s[16:19], 0 idxen            // 000000004B88: E0502000 8004BAE8
	buffer_load_dword v187, v233, s[16:19], 0 idxen            // 000000004B90: E0502000 8004BBE9
	s_mul_i32 s60, 4, s7                                       // 000000004B98: 923C0784
	s_cmp_lt_i32 1, s72                                        // 000000004B9C: BF044881
	s_cselect_b32 s60, s60, 0                                  // 000000004BA0: 853C803C
	v_add_u32_e32 v232, s60, v232                              // 000000004BA4: 69D1D03C
	v_add_u32_e32 v233, s60, v233                              // 000000004BA8: 69D3D23C
	s_waitcnt lgkmcnt(0)                                       // 000000004BAC: BF8CC07F
	s_barrier                                                  // 000000004BB0: BF8A0000
	ds_read_b128 a[24:27], v25 offset:8704                     // 000000004BB4: DBFE2200 18000019
	ds_read_b128 a[28:31], v25 offset:8960                     // 000000004BBC: DBFE2300 1C000019
	ds_read_b128 a[32:35], v25 offset:13056                    // 000000004BC4: DBFE3300 20000019
	ds_read_b128 a[36:39], v25 offset:13312                    // 000000004BCC: DBFE3400 24000019
	ds_read_b128 a[0:3], v24                                   // 000000004BD4: DBFE0000 00000018
	ds_read_b128 a[4:7], v24 offset:512                        // 000000004BDC: DBFE0200 04000018
	s_waitcnt vmcnt(16) lgkmcnt(0)                             // 000000004BE4: BF8C4070
	s_barrier                                                  // 000000004BE8: BF8A0000
	s_cmp_lt_i32 1, s72                                        // 000000004BEC: BF044881
	s_cbranch_scc1 label_0385                                  // 000000004BF0: BF850008
	v_mov_b32_e32 v188, 0                                      // 000000004BF4: 7F780280
	v_mov_b32_e32 v189, 0                                      // 000000004BF8: 7F7A0280
	v_mov_b32_e32 v190, 0                                      // 000000004BFC: 7F7C0280
	v_mov_b32_e32 v191, 0                                      // 000000004C00: 7F7E0280
	v_mov_b32_e32 v192, 0                                      // 000000004C04: 7F800280
	v_mov_b32_e32 v193, 0                                      // 000000004C08: 7F820280
	v_mov_b32_e32 v194, 0                                      // 000000004C0C: 7F840280
	v_mov_b32_e32 v195, 0                                      // 000000004C10: 7F860280

0000000000004c14 <label_0385>:
	v_perm_b32 v204, v189, v188, s63                           // 000000004C14: D1ED00CC 00FF79BD
	v_perm_b32 v205, v189, v188, s64                           // 000000004C1C: D1ED00CD 010379BD
	v_perm_b32 v206, v191, v190, s63                           // 000000004C24: D1ED00CE 00FF7DBF
	v_perm_b32 v207, v191, v190, s64                           // 000000004C2C: D1ED00CF 01037DBF
	v_perm_b32 v208, v193, v192, s63                           // 000000004C34: D1ED00D0 00FF81C1
	v_perm_b32 v209, v193, v192, s64                           // 000000004C3C: D1ED00D1 010381C1
	v_perm_b32 v210, v195, v194, s63                           // 000000004C44: D1ED00D2 00FF85C3
	v_perm_b32 v211, v195, v194, s64                           // 000000004C4C: D1ED00D3 010385C3
	ds_write_b32 v15, v204 offset:8704                         // 000000004C54: D81A2200 0000CC0F
	ds_write_b32 v15, v205 offset:9760                         // 000000004C5C: D81A2620 0000CD0F
	ds_write_b32 v15, v206 offset:10880                        // 000000004C64: D81A2A80 0000CE0F
	ds_write_b32 v15, v207 offset:11936                        // 000000004C6C: D81A2EA0 0000CF0F
	ds_write_b32 v15, v208 offset:13056                        // 000000004C74: D81A3300 0000D00F
	ds_write_b32 v15, v209 offset:14112                        // 000000004C7C: D81A3720 0000D10F
	ds_write_b32 v15, v210 offset:15232                        // 000000004C84: D81A3B80 0000D20F
	ds_write_b32 v15, v211 offset:16288                        // 000000004C8C: D81A3FA0 0000D30F
	ds_write_b32 v13, v188                                     // 000000004C94: D81A0000 0000BC0D
	ds_write_b32 v13, v189 offset:1056                         // 000000004C9C: D81A0420 0000BD0D
	ds_write_b32 v13, v190 offset:2176                         // 000000004CA4: D81A0880 0000BE0D
	ds_write_b32 v13, v191 offset:3232                         // 000000004CAC: D81A0CA0 0000BF0D
	ds_write_b32 v13, v192 offset:4352                         // 000000004CB4: D81A1100 0000C00D
	ds_write_b32 v13, v193 offset:5408                         // 000000004CBC: D81A1520 0000C10D
	ds_write_b32 v13, v194 offset:6528                         // 000000004CC4: D81A1980 0000C20D
	ds_write_b32 v13, v195 offset:7584                         // 000000004CCC: D81A1DA0 0000C30D
	buffer_load_dword v188, v232, s[16:19], 0 idxen            // 000000004CD4: E0502000 8004BCE8
	buffer_load_dword v189, v233, s[16:19], 0 idxen            // 000000004CDC: E0502000 8004BDE9
	s_mul_i32 s60, 4, s7                                       // 000000004CE4: 923C0784
	s_cmp_lt_i32 1, s72                                        // 000000004CE8: BF044881
	s_cselect_b32 s60, s60, 0                                  // 000000004CEC: 853C803C
	v_add_u32_e32 v232, s60, v232                              // 000000004CF0: 69D1D03C
	v_add_u32_e32 v233, s60, v233                              // 000000004CF4: 69D3D23C
	buffer_load_dword v190, v232, s[16:19], 0 idxen            // 000000004CF8: E0502000 8004BEE8
	buffer_load_dword v191, v233, s[16:19], 0 idxen            // 000000004D00: E0502000 8004BFE9
	s_mul_i32 s60, 4, s7                                       // 000000004D08: 923C0784
	s_cmp_lt_i32 1, s72                                        // 000000004D0C: BF044881
	s_cselect_b32 s60, s60, 0                                  // 000000004D10: 853C803C
	v_add_u32_e32 v232, s60, v232                              // 000000004D14: 69D1D03C
	v_add_u32_e32 v233, s60, v233                              // 000000004D18: 69D3D23C
	buffer_load_dword v192, v232, s[16:19], 0 idxen            // 000000004D1C: E0502000 8004C0E8
	buffer_load_dword v193, v233, s[16:19], 0 idxen            // 000000004D24: E0502000 8004C1E9
	s_mul_i32 s60, 4, s7                                       // 000000004D2C: 923C0784
	s_cmp_lt_i32 1, s72                                        // 000000004D30: BF044881
	s_cselect_b32 s60, s60, 0                                  // 000000004D34: 853C803C
	v_add_u32_e32 v232, s60, v232                              // 000000004D38: 69D1D03C
	v_add_u32_e32 v233, s60, v233                              // 000000004D3C: 69D3D23C
	buffer_load_dword v194, v232, s[16:19], 0 idxen            // 000000004D40: E0502000 8004C2E8
	buffer_load_dword v195, v233, s[16:19], 0 idxen            // 000000004D48: E0502000 8004C3E9
	s_mul_i32 s60, 4, s7                                       // 000000004D50: 923C0784
	s_cmp_lt_i32 2, s72                                        // 000000004D54: BF044882
	s_cselect_b32 s60, s60, 0                                  // 000000004D58: 853C803C
	v_add_u32_e32 v232, s60, v232                              // 000000004D5C: 69D1D03C
	v_add_u32_e32 v233, s60, v233                              // 000000004D60: 69D3D23C
	s_waitcnt lgkmcnt(0)                                       // 000000004D64: BF8CC07F
	s_barrier                                                  // 000000004D68: BF8A0000
	ds_read_b128 a[40:43], v25 offset:8704                     // 000000004D6C: DBFE2200 28000019
	ds_read_b128 a[44:47], v25 offset:8960                     // 000000004D74: DBFE2300 2C000019
	ds_read_b128 a[48:51], v25 offset:13056                    // 000000004D7C: DBFE3300 30000019
	ds_read_b128 a[52:55], v25 offset:13312                    // 000000004D84: DBFE3400 34000019
	ds_read_b128 a[8:11], v24                                  // 000000004D8C: DBFE0000 08000018
	ds_read_b128 a[12:15], v24 offset:512                      // 000000004D94: DBFE0200 0C000018
	s_waitcnt vmcnt(16) lgkmcnt(0)                             // 000000004D9C: BF8C4070
	s_barrier                                                  // 000000004DA0: BF8A0000
	s_cmp_lt_i32 2, s72                                        // 000000004DA4: BF044882
	s_cbranch_scc1 label_03F3                                  // 000000004DA8: BF850008
	v_mov_b32_e32 v196, 0                                      // 000000004DAC: 7F880280
	v_mov_b32_e32 v197, 0                                      // 000000004DB0: 7F8A0280
	v_mov_b32_e32 v198, 0                                      // 000000004DB4: 7F8C0280
	v_mov_b32_e32 v199, 0                                      // 000000004DB8: 7F8E0280
	v_mov_b32_e32 v200, 0                                      // 000000004DBC: 7F900280
	v_mov_b32_e32 v201, 0                                      // 000000004DC0: 7F920280
	v_mov_b32_e32 v202, 0                                      // 000000004DC4: 7F940280
	v_mov_b32_e32 v203, 0                                      // 000000004DC8: 7F960280

0000000000004dcc <label_03F3>:
	v_perm_b32 v204, v197, v196, s63                           // 000000004DCC: D1ED00CC 00FF89C5
	v_perm_b32 v205, v197, v196, s64                           // 000000004DD4: D1ED00CD 010389C5
	v_perm_b32 v206, v199, v198, s63                           // 000000004DDC: D1ED00CE 00FF8DC7
	v_perm_b32 v207, v199, v198, s64                           // 000000004DE4: D1ED00CF 01038DC7
	v_perm_b32 v208, v201, v200, s63                           // 000000004DEC: D1ED00D0 00FF91C9
	v_perm_b32 v209, v201, v200, s64                           // 000000004DF4: D1ED00D1 010391C9
	v_perm_b32 v210, v203, v202, s63                           // 000000004DFC: D1ED00D2 00FF95CB
	v_perm_b32 v211, v203, v202, s64                           // 000000004E04: D1ED00D3 010395CB
	ds_write_b32 v15, v204 offset:8704                         // 000000004E0C: D81A2200 0000CC0F
	ds_write_b32 v15, v205 offset:9760                         // 000000004E14: D81A2620 0000CD0F
	ds_write_b32 v15, v206 offset:10880                        // 000000004E1C: D81A2A80 0000CE0F
	ds_write_b32 v15, v207 offset:11936                        // 000000004E24: D81A2EA0 0000CF0F
	ds_write_b32 v15, v208 offset:13056                        // 000000004E2C: D81A3300 0000D00F
	ds_write_b32 v15, v209 offset:14112                        // 000000004E34: D81A3720 0000D10F
	ds_write_b32 v15, v210 offset:15232                        // 000000004E3C: D81A3B80 0000D20F
	ds_write_b32 v15, v211 offset:16288                        // 000000004E44: D81A3FA0 0000D30F
	ds_write_b32 v13, v196                                     // 000000004E4C: D81A0000 0000C40D
	ds_write_b32 v13, v197 offset:1056                         // 000000004E54: D81A0420 0000C50D
	ds_write_b32 v13, v198 offset:2176                         // 000000004E5C: D81A0880 0000C60D
	ds_write_b32 v13, v199 offset:3232                         // 000000004E64: D81A0CA0 0000C70D
	ds_write_b32 v13, v200 offset:4352                         // 000000004E6C: D81A1100 0000C80D
	ds_write_b32 v13, v201 offset:5408                         // 000000004E74: D81A1520 0000C90D
	ds_write_b32 v13, v202 offset:6528                         // 000000004E7C: D81A1980 0000CA0D
	ds_write_b32 v13, v203 offset:7584                         // 000000004E84: D81A1DA0 0000CB0D
	buffer_load_dword v196, v232, s[16:19], 0 idxen            // 000000004E8C: E0502000 8004C4E8
	buffer_load_dword v197, v233, s[16:19], 0 idxen            // 000000004E94: E0502000 8004C5E9
	s_mul_i32 s60, 4, s7                                       // 000000004E9C: 923C0784
	s_cmp_lt_i32 2, s72                                        // 000000004EA0: BF044882
	s_cselect_b32 s60, s60, 0                                  // 000000004EA4: 853C803C
	v_add_u32_e32 v232, s60, v232                              // 000000004EA8: 69D1D03C
	v_add_u32_e32 v233, s60, v233                              // 000000004EAC: 69D3D23C
	buffer_load_dword v198, v232, s[16:19], 0 idxen            // 000000004EB0: E0502000 8004C6E8
	buffer_load_dword v199, v233, s[16:19], 0 idxen            // 000000004EB8: E0502000 8004C7E9
	s_mul_i32 s60, 4, s7                                       // 000000004EC0: 923C0784
	s_cmp_lt_i32 2, s72                                        // 000000004EC4: BF044882
	s_cselect_b32 s60, s60, 0                                  // 000000004EC8: 853C803C
	v_add_u32_e32 v232, s60, v232                              // 000000004ECC: 69D1D03C
	v_add_u32_e32 v233, s60, v233                              // 000000004ED0: 69D3D23C
	buffer_load_dword v200, v232, s[16:19], 0 idxen            // 000000004ED4: E0502000 8004C8E8
	buffer_load_dword v201, v233, s[16:19], 0 idxen            // 000000004EDC: E0502000 8004C9E9
	s_mul_i32 s60, 4, s7                                       // 000000004EE4: 923C0784
	s_cmp_lt_i32 2, s72                                        // 000000004EE8: BF044882
	s_cselect_b32 s60, s60, 0                                  // 000000004EEC: 853C803C
	v_add_u32_e32 v232, s60, v232                              // 000000004EF0: 69D1D03C
	v_add_u32_e32 v233, s60, v233                              // 000000004EF4: 69D3D23C
	buffer_load_dword v202, v232, s[16:19], 0 idxen            // 000000004EF8: E0502000 8004CAE8
	buffer_load_dword v203, v233, s[16:19], 0 idxen            // 000000004F00: E0502000 8004CBE9
	s_mul_i32 s60, 4, s7                                       // 000000004F08: 923C0784
	s_cmp_lt_i32 3, s72                                        // 000000004F0C: BF044883
	s_cselect_b32 s60, s60, 0                                  // 000000004F10: 853C803C
	v_add_u32_e32 v232, s60, v232                              // 000000004F14: 69D1D03C
	v_add_u32_e32 v233, s60, v233                              // 000000004F18: 69D3D23C
	s_waitcnt lgkmcnt(0)                                       // 000000004F1C: BF8CC07F
	s_barrier                                                  // 000000004F20: BF8A0000
	ds_read_b128 a[56:59], v25 offset:8704                     // 000000004F24: DBFE2200 38000019
	ds_read_b128 a[60:63], v25 offset:8960                     // 000000004F2C: DBFE2300 3C000019
	ds_read_b128 a[64:67], v25 offset:13056                    // 000000004F34: DBFE3300 40000019
	ds_read_b128 a[68:71], v25 offset:13312                    // 000000004F3C: DBFE3400 44000019
	ds_read_b128 a[16:19], v24                                 // 000000004F44: DBFE0000 10000018
	ds_read_b128 a[20:23], v24 offset:512                      // 000000004F4C: DBFE0200 14000018
	s_waitcnt vmcnt(16) lgkmcnt(0)                             // 000000004F54: BF8C4070
	s_barrier                                                  // 000000004F58: BF8A0000
	s_cmp_lt_i32 0, s72                                        // 000000004F5C: BF044880
	s_cbranch_scc1 label_0461                                  // 000000004F60: BF850008
	v_mov_b32_e32 v180, 0                                      // 000000004F64: 7F680280
	v_mov_b32_e32 v181, 0                                      // 000000004F68: 7F6A0280
	v_mov_b32_e32 v182, 0                                      // 000000004F6C: 7F6C0280
	v_mov_b32_e32 v183, 0                                      // 000000004F70: 7F6E0280
	v_mov_b32_e32 v184, 0                                      // 000000004F74: 7F700280
	v_mov_b32_e32 v185, 0                                      // 000000004F78: 7F720280
	v_mov_b32_e32 v186, 0                                      // 000000004F7C: 7F740280
	v_mov_b32_e32 v187, 0                                      // 000000004F80: 7F760280

0000000000004f84 <label_0461>:
	ds_write_b32 v13, v180                                     // 000000004F84: D81A0000 0000B40D
	ds_write_b32 v13, v181 offset:1056                         // 000000004F8C: D81A0420 0000B50D
	ds_write_b32 v13, v182 offset:2176                         // 000000004F94: D81A0880 0000B60D
	ds_write_b32 v13, v183 offset:3232                         // 000000004F9C: D81A0CA0 0000B70D
	ds_write_b32 v13, v184 offset:4352                         // 000000004FA4: D81A1100 0000B80D
	ds_write_b32 v13, v185 offset:5408                         // 000000004FAC: D81A1520 0000B90D
	ds_write_b32 v13, v186 offset:6528                         // 000000004FB4: D81A1980 0000BA0D
	ds_write_b32 v13, v187 offset:7584                         // 000000004FBC: D81A1DA0 0000BB0D
	s_mov_b32 s71, s5                                          // 000000004FC4: BEC70005
	v_lshrrev_b32_e32 v32, 4, v0                               // 000000004FC8: 20400084
	v_and_b32_e32 v33, 1, v32                                  // 000000004FCC: 26424081
	v_lshlrev_b32_e32 v33, 1, v33                              // 000000004FD0: 24424281
	v_mul_i32_i24_e32 v33, s71, v33                            // 000000004FD4: 0C424247
	v_and_b32_e32 v34, 2, v32                                  // 000000004FD8: 26444082
	v_lshlrev_b32_e32 v34, 5, v34                              // 000000004FDC: 24444485
	v_add_u32_e32 v33, v34, v33                                // 000000004FE0: 68424322
	v_and_b32_e32 v32, 15, v0                                  // 000000004FE4: 2640008F
	v_lshlrev_b32_e32 v32, 2, v32                              // 000000004FE8: 24404082
	v_add_u32_e32 v1, v32, v33                                 // 000000004FEC: 68024320
	s_mul_i32 s60, s46, s71                                    // 000000004FF0: 923C472E
	s_mul_i32 s60, s60, 4                                      // 000000004FF4: 923C843C
	v_add_u32_e32 v1, s60, v1                                  // 000000004FF8: 6802023C
	v_add_u32_e32 v2, s71, v1                                  // 000000004FFC: 68040247
	s_mul_i32 s60, 16, s71                                     // 000000005000: 923C4790
	v_add_u32_e32 v3, s60, v1                                  // 000000005004: 6806023C
	v_add_u32_e32 v4, s60, v2                                  // 000000005008: 6808043C
	s_mov_b32 s71, s51                                         // 00000000500C: BEC70033
	v_lshrrev_b32_e32 v32, 4, v0                               // 000000005010: 20400084
	v_and_b32_e32 v33, 1, v32                                  // 000000005014: 26424081
	v_lshlrev_b32_e32 v33, 1, v33                              // 000000005018: 24424281
	v_mul_i32_i24_e32 v33, s71, v33                            // 00000000501C: 0C424247
	v_and_b32_e32 v34, 2, v32                                  // 000000005020: 26444082
	v_lshlrev_b32_e32 v34, 5, v34                              // 000000005024: 24444485
	v_add_u32_e32 v33, v34, v33                                // 000000005028: 68424322
	v_and_b32_e32 v32, 15, v0                                  // 00000000502C: 2640008F
	v_lshlrev_b32_e32 v32, 2, v32                              // 000000005030: 24404082
	v_add_u32_e32 v232, v32, v33                               // 000000005034: 69D04320
	s_mul_i32 s60, s46, s71                                    // 000000005038: 923C472E
	s_mul_i32 s60, s60, 4                                      // 00000000503C: 923C843C
	v_add_u32_e32 v232, s60, v232                              // 000000005040: 69D1D03C
	v_add_u32_e32 v233, s71, v232                              // 000000005044: 69D3D047
	s_mul_i32 s60, 16, s71                                     // 000000005048: 923C4790
	v_add_u32_e32 v234, s60, v232                              // 00000000504C: 69D5D03C
	v_add_u32_e32 v235, s60, v233                              // 000000005050: 69D7D23C
	v_lshrrev_b32_e32 v1, 2, v1                                // 000000005054: 20020282
	v_lshrrev_b32_e32 v2, 2, v2                                // 000000005058: 20040482
	v_lshrrev_b32_e32 v3, 2, v3                                // 00000000505C: 20060682
	v_lshrrev_b32_e32 v4, 2, v4                                // 000000005060: 20080882
	v_lshrrev_b32_e32 v232, 2, v232                            // 000000005064: 21D1D082
	v_lshrrev_b32_e32 v233, 2, v233                            // 000000005068: 21D3D282
	v_lshrrev_b32_e32 v234, 2, v234                            // 00000000506C: 21D5D482
	v_lshrrev_b32_e32 v235, 2, v235                            // 000000005070: 21D7D682
	buffer_load_dword v36, v1, s[8:11], 0 idxen                // 000000005074: E0502000 80022401
	buffer_load_dword v37, v2, s[8:11], 0 idxen                // 00000000507C: E0502000 80022502
	buffer_load_dword v38, v3, s[8:11], 0 idxen                // 000000005084: E0502000 80022603
	buffer_load_dword v39, v4, s[8:11], 0 idxen                // 00000000508C: E0502000 80022704
	buffer_load_dword v44, v232, s[20:23], 0 idxen             // 000000005094: E0502000 80052CE8
	buffer_load_dword v45, v233, s[20:23], 0 idxen             // 00000000509C: E0502000 80052DE9
	buffer_load_dword v46, v234, s[20:23], 0 idxen             // 0000000050A4: E0502000 80052EEA
	buffer_load_dword v47, v235, s[20:23], 0 idxen             // 0000000050AC: E0502000 80052FEB
	s_waitcnt lgkmcnt(0)                                       // 0000000050B4: BF8CC07F
	s_barrier                                                  // 0000000050B8: BF8A0000
	ds_read_b128 a[72:75], v24                                 // 0000000050BC: DBFE0000 48000018
	ds_read_b128 a[76:79], v24 offset:512                      // 0000000050C4: DBFE0200 4C000018
	v_add_u32_e32 v1, s68, v1                                  // 0000000050CC: 68020244
	v_add_u32_e32 v2, s68, v2                                  // 0000000050D0: 68040444
	v_add_u32_e32 v3, s68, v3                                  // 0000000050D4: 68060644
	v_add_u32_e32 v4, s68, v4                                  // 0000000050D8: 68080844
	v_add_u32_e32 v232, s100, v232                             // 0000000050DC: 69D1D064
	v_add_u32_e32 v233, s100, v233                             // 0000000050E0: 69D3D264
	v_add_u32_e32 v234, s100, v234                             // 0000000050E4: 69D5D464
	v_add_u32_e32 v235, s100, v235                             // 0000000050E8: 69D7D664
	s_waitcnt vmcnt(16) lgkmcnt(0)                             // 0000000050EC: BF8C4070
	s_barrier                                                  // 0000000050F0: BF8A0000
	s_cmp_lt_i32 1, s72                                        // 0000000050F4: BF044881
	s_cbranch_scc1 label_04C7                                  // 0000000050F8: BF850008
	v_mov_b32_e32 v188, 0                                      // 0000000050FC: 7F780280
	v_mov_b32_e32 v189, 0                                      // 000000005100: 7F7A0280
	v_mov_b32_e32 v190, 0                                      // 000000005104: 7F7C0280
	v_mov_b32_e32 v191, 0                                      // 000000005108: 7F7E0280
	v_mov_b32_e32 v192, 0                                      // 00000000510C: 7F800280
	v_mov_b32_e32 v193, 0                                      // 000000005110: 7F820280
	v_mov_b32_e32 v194, 0                                      // 000000005114: 7F840280
	v_mov_b32_e32 v195, 0                                      // 000000005118: 7F860280

000000000000511c <label_04C7>:
	ds_write_b32 v13, v188                                     // 00000000511C: D81A0000 0000BC0D
	ds_write_b32 v13, v189 offset:1056                         // 000000005124: D81A0420 0000BD0D
	ds_write_b32 v13, v190 offset:2176                         // 00000000512C: D81A0880 0000BE0D
	ds_write_b32 v13, v191 offset:3232                         // 000000005134: D81A0CA0 0000BF0D
	ds_write_b32 v13, v192 offset:4352                         // 00000000513C: D81A1100 0000C00D
	ds_write_b32 v13, v193 offset:5408                         // 000000005144: D81A1520 0000C10D
	ds_write_b32 v13, v194 offset:6528                         // 00000000514C: D81A1980 0000C20D
	ds_write_b32 v13, v195 offset:7584                         // 000000005154: D81A1DA0 0000C30D
	buffer_load_dword v40, v1, s[8:11], 0 idxen                // 00000000515C: E0502000 80022801
	buffer_load_dword v41, v2, s[8:11], 0 idxen                // 000000005164: E0502000 80022902
	buffer_load_dword v42, v3, s[8:11], 0 idxen                // 00000000516C: E0502000 80022A03
	buffer_load_dword v43, v4, s[8:11], 0 idxen                // 000000005174: E0502000 80022B04
	buffer_load_dword v48, v232, s[20:23], 0 idxen             // 00000000517C: E0502000 800530E8
	buffer_load_dword v49, v233, s[20:23], 0 idxen             // 000000005184: E0502000 800531E9
	buffer_load_dword v50, v234, s[20:23], 0 idxen             // 00000000518C: E0502000 800532EA
	buffer_load_dword v51, v235, s[20:23], 0 idxen             // 000000005194: E0502000 800533EB
	s_waitcnt lgkmcnt(0)                                       // 00000000519C: BF8CC07F
	s_barrier                                                  // 0000000051A0: BF8A0000
	ds_read_b128 a[80:83], v24                                 // 0000000051A4: DBFE0000 50000018
	ds_read_b128 a[84:87], v24 offset:512                      // 0000000051AC: DBFE0200 54000018
	s_add_u32 s60, 64, s59                                     // 0000000051B4: 803C3BC0
	s_cmp_lt_u32 s60, s58                                      // 0000000051B8: BF0A3A3C
	s_cselect_b32 s68, s68, 0                                  // 0000000051BC: 85448044
	s_cselect_b32 s100, s100, 0                                // 0000000051C0: 85648064
	v_add_u32_e32 v1, s68, v1                                  // 0000000051C4: 68020244
	v_add_u32_e32 v2, s68, v2                                  // 0000000051C8: 68040444
	v_add_u32_e32 v3, s68, v3                                  // 0000000051CC: 68060644
	v_add_u32_e32 v4, s68, v4                                  // 0000000051D0: 68080844
	v_add_u32_e32 v232, s100, v232                             // 0000000051D4: 69D1D064
	v_add_u32_e32 v233, s100, v233                             // 0000000051D8: 69D3D264
	v_add_u32_e32 v234, s100, v234                             // 0000000051DC: 69D5D464
	v_add_u32_e32 v235, s100, v235                             // 0000000051E0: 69D7D664
	s_waitcnt vmcnt(16) lgkmcnt(0)                             // 0000000051E4: BF8C4070
	s_barrier                                                  // 0000000051E8: BF8A0000
	s_cmp_lt_i32 2, s72                                        // 0000000051EC: BF044882
	s_cbranch_scc1 label_0505                                  // 0000000051F0: BF850008
	v_mov_b32_e32 v196, 0                                      // 0000000051F4: 7F880280
	v_mov_b32_e32 v197, 0                                      // 0000000051F8: 7F8A0280
	v_mov_b32_e32 v198, 0                                      // 0000000051FC: 7F8C0280
	v_mov_b32_e32 v199, 0                                      // 000000005200: 7F8E0280
	v_mov_b32_e32 v200, 0                                      // 000000005204: 7F900280
	v_mov_b32_e32 v201, 0                                      // 000000005208: 7F920280
	v_mov_b32_e32 v202, 0                                      // 00000000520C: 7F940280
	v_mov_b32_e32 v203, 0                                      // 000000005210: 7F960280

0000000000005214 <label_0505>:
	ds_write_b32 v13, v196                                     // 000000005214: D81A0000 0000C40D
	ds_write_b32 v13, v197 offset:1056                         // 00000000521C: D81A0420 0000C50D
	ds_write_b32 v13, v198 offset:2176                         // 000000005224: D81A0880 0000C60D
	ds_write_b32 v13, v199 offset:3232                         // 00000000522C: D81A0CA0 0000C70D
	ds_write_b32 v13, v200 offset:4352                         // 000000005234: D81A1100 0000C80D
	ds_write_b32 v13, v201 offset:5408                         // 00000000523C: D81A1520 0000C90D
	ds_write_b32 v13, v202 offset:6528                         // 000000005244: D81A1980 0000CA0D
	ds_write_b32 v13, v203 offset:7584                         // 00000000524C: D81A1DA0 0000CB0D
	s_waitcnt lgkmcnt(0)                                       // 000000005254: BF8CC07F
	s_barrier                                                  // 000000005258: BF8A0000
	ds_read_b128 a[88:91], v24                                 // 00000000525C: DBFE0000 58000018
	ds_read_b128 a[92:95], v24 offset:512                      // 000000005264: DBFE0200 5C000018
	s_waitcnt vmcnt(8) lgkmcnt(0)                              // 00000000526C: BF8C0078
	s_barrier                                                  // 000000005270: BF8A0000
	buffer_load_dword v11, s[24:27], 0 idxen lds               // 000000005274: E0512000 8006000B
	s_mov_b32 m0, s81                                          // 00000000527C: BEFC0051
	v_add_u32_e32 v11, s69, v11                                // 000000005280: 68161645
	v_perm_b32 v100, v37, v36, s63                             // 000000005284: D1ED0064 00FE4925
	v_perm_b32 v101, v37, v36, s64                             // 00000000528C: D1ED0065 01024925
	v_perm_b32 v102, v39, v38, s63                             // 000000005294: D1ED0066 00FE4D27
	v_perm_b32 v103, v39, v38, s64                             // 00000000529C: D1ED0067 01024D27
	ds_write_b32 v15, v100 offset:4352                         // 0000000052A4: D81A1100 0000640F
	ds_write_b32 v15, v101 offset:5408                         // 0000000052AC: D81A1520 0000650F
	ds_write_b32 v15, v102 offset:6528                         // 0000000052B4: D81A1980 0000660F
	ds_write_b32 v15, v103 offset:7584                         // 0000000052BC: D81A1DA0 0000670F
	ds_write_b32 v13, v36                                      // 0000000052C4: D81A0000 0000240D
	ds_write_b32 v13, v37 offset:1056                          // 0000000052CC: D81A0420 0000250D
	ds_write_b32 v13, v38 offset:2176                          // 0000000052D4: D81A0880 0000260D
	ds_write_b32 v13, v39 offset:3232                          // 0000000052DC: D81A0CA0 0000270D
	buffer_load_dword v11, s[24:27], 0 idxen lds               // 0000000052E4: E0512000 8006000B
	s_add_u32 s60, 64, s59                                     // 0000000052EC: 803C3BC0
	s_cmp_lt_u32 s60, s58                                      // 0000000052F0: BF0A3A3C
	s_cselect_b32 s69, s69, 0                                  // 0000000052F4: 85458045
	s_mov_b32 m0, s80                                          // 0000000052F8: BEFC0050
	v_add_u32_e32 v11, s69, v11                                // 0000000052FC: 68161645
	v_perm_b32 v104, v45, v44, s63                             // 000000005300: D1ED0068 00FE592D
	v_perm_b32 v105, v45, v44, s64                             // 000000005308: D1ED0069 0102592D
	v_perm_b32 v106, v47, v46, s63                             // 000000005310: D1ED006A 00FE5D2F
	v_perm_b32 v107, v47, v46, s64                             // 000000005318: D1ED006B 01025D2F
	ds_write_b32 v15, v104 offset:13056                        // 000000005320: D81A3300 0000680F
	ds_write_b32 v15, v105 offset:14112                        // 000000005328: D81A3720 0000690F
	ds_write_b32 v15, v106 offset:15232                        // 000000005330: D81A3B80 00006A0F
	ds_write_b32 v15, v107 offset:16288                        // 000000005338: D81A3FA0 00006B0F
	ds_write_b32 v13, v44 offset:8704                          // 000000005340: D81A2200 00002C0D
	ds_write_b32 v13, v45 offset:9760                          // 000000005348: D81A2620 00002D0D
	ds_write_b32 v13, v46 offset:10880                         // 000000005350: D81A2A80 00002E0D
	ds_write_b32 v13, v47 offset:11936                         // 000000005358: D81A2EA0 00002F0D
	s_waitcnt vmcnt(1) lgkmcnt(0)                              // 000000005360: BF8C0071
	s_barrier                                                  // 000000005364: BF8A0000
	ds_read_b128 a[96:99], v12                                 // 000000005368: DBFE0000 6000000C
	ds_read_b128 a[100:103], v12 offset:512                    // 000000005370: DBFE0200 6400000C
	ds_read_b128 a[104:107], v12 offset:2176                   // 000000005378: DBFE0880 6800000C
	ds_read_b128 a[108:111], v12 offset:2688                   // 000000005380: DBFE0A80 6C00000C
	ds_read_b128 v[108:111], v12 offset:8704                   // 000000005388: D9FE2200 6C00000C
	ds_read_b128 v[112:115], v12 offset:9216                   // 000000005390: D9FE2400 7000000C
	ds_read_b128 v[116:119], v12 offset:10880                  // 000000005398: D9FE2A80 7400000C
	ds_read_b128 v[120:123], v12 offset:11392                  // 0000000053A0: D9FE2C80 7800000C
	ds_read_b32 v140, v23 offset:39424                         // 0000000053A8: D86C9A00 8C000017
	ds_read_b32 v144, v23 offset:39488                         // 0000000053B0: D86C9A40 90000017
	ds_read_b32 v176, v23 offset:39680                         // 0000000053B8: D86C9B00 B0000017
	ds_read_b32 v177, v23 offset:39744                         // 0000000053C0: D86C9B40 B1000017
	v_accvgpr_write_b32 a112, 0                                // 0000000053C8: D3D94070 18000080
	v_mov_b32_e32 v180, 0                                      // 0000000053D0: 7F680280
	v_accvgpr_write_b32 a113, 0                                // 0000000053D4: D3D94071 18000080
	v_mov_b32_e32 v181, 0                                      // 0000000053DC: 7F6A0280
	v_accvgpr_write_b32 a114, 0                                // 0000000053E0: D3D94072 18000080
	v_mov_b32_e32 v182, 0                                      // 0000000053E8: 7F6C0280
	v_accvgpr_write_b32 a115, 0                                // 0000000053EC: D3D94073 18000080
	v_mov_b32_e32 v183, 0                                      // 0000000053F4: 7F6E0280
	v_accvgpr_write_b32 a116, 0                                // 0000000053F8: D3D94074 18000080
	v_mov_b32_e32 v184, 0                                      // 000000005400: 7F700280
	v_accvgpr_write_b32 a117, 0                                // 000000005404: D3D94075 18000080
	v_mov_b32_e32 v185, 0                                      // 00000000540C: 7F720280
	v_accvgpr_write_b32 a118, 0                                // 000000005410: D3D94076 18000080
	v_mov_b32_e32 v186, 0                                      // 000000005418: 7F740280
	v_accvgpr_write_b32 a119, 0                                // 00000000541C: D3D94077 18000080
	v_mov_b32_e32 v187, 0                                      // 000000005424: 7F760280
	v_accvgpr_write_b32 a120, 0                                // 000000005428: D3D94078 18000080
	v_mov_b32_e32 v188, 0                                      // 000000005430: 7F780280
	v_accvgpr_write_b32 a121, 0                                // 000000005434: D3D94079 18000080
	v_mov_b32_e32 v189, 0                                      // 00000000543C: 7F7A0280
	v_accvgpr_write_b32 a122, 0                                // 000000005440: D3D9407A 18000080
	v_mov_b32_e32 v190, 0                                      // 000000005448: 7F7C0280
	v_accvgpr_write_b32 a123, 0                                // 00000000544C: D3D9407B 18000080
	v_mov_b32_e32 v191, 0                                      // 000000005454: 7F7E0280
	v_accvgpr_write_b32 a124, 0                                // 000000005458: D3D9407C 18000080
	v_mov_b32_e32 v192, 0                                      // 000000005460: 7F800280
	v_accvgpr_write_b32 a125, 0                                // 000000005464: D3D9407D 18000080
	v_mov_b32_e32 v193, 0                                      // 00000000546C: 7F820280
	v_accvgpr_write_b32 a126, 0                                // 000000005470: D3D9407E 18000080
	v_mov_b32_e32 v194, 0                                      // 000000005478: 7F840280
	v_accvgpr_write_b32 a127, 0                                // 00000000547C: D3D9407F 18000080
	v_mov_b32_e32 v195, 0                                      // 000000005484: 7F860280
	v_accvgpr_write_b32 a128, 0                                // 000000005488: D3D94080 18000080
	v_mov_b32_e32 v196, 0                                      // 000000005490: 7F880280
	v_accvgpr_write_b32 a129, 0                                // 000000005494: D3D94081 18000080
	v_mov_b32_e32 v197, 0                                      // 00000000549C: 7F8A0280
	v_accvgpr_write_b32 a130, 0                                // 0000000054A0: D3D94082 18000080
	v_mov_b32_e32 v198, 0                                      // 0000000054A8: 7F8C0280
	v_accvgpr_write_b32 a131, 0                                // 0000000054AC: D3D94083 18000080
	v_mov_b32_e32 v199, 0                                      // 0000000054B4: 7F8E0280
	v_accvgpr_write_b32 a132, 0                                // 0000000054B8: D3D94084 18000080
	v_mov_b32_e32 v200, 0                                      // 0000000054C0: 7F900280
	v_accvgpr_write_b32 a133, 0                                // 0000000054C4: D3D94085 18000080
	v_mov_b32_e32 v201, 0                                      // 0000000054CC: 7F920280
	v_accvgpr_write_b32 a134, 0                                // 0000000054D0: D3D94086 18000080
	v_mov_b32_e32 v202, 0                                      // 0000000054D8: 7F940280
	v_accvgpr_write_b32 a135, 0                                // 0000000054DC: D3D94087 18000080
	v_mov_b32_e32 v203, 0                                      // 0000000054E4: 7F960280
	v_accvgpr_write_b32 a136, 0                                // 0000000054E8: D3D94088 18000080
	v_mov_b32_e32 v204, 0                                      // 0000000054F0: 7F980280
	v_accvgpr_write_b32 a137, 0                                // 0000000054F4: D3D94089 18000080
	v_mov_b32_e32 v205, 0                                      // 0000000054FC: 7F9A0280
	v_accvgpr_write_b32 a138, 0                                // 000000005500: D3D9408A 18000080
	v_mov_b32_e32 v206, 0                                      // 000000005508: 7F9C0280
	v_accvgpr_write_b32 a139, 0                                // 00000000550C: D3D9408B 18000080
	v_mov_b32_e32 v207, 0                                      // 000000005514: 7F9E0280
	v_accvgpr_write_b32 a140, 0                                // 000000005518: D3D9408C 18000080
	v_mov_b32_e32 v208, 0                                      // 000000005520: 7FA00280
	v_accvgpr_write_b32 a141, 0                                // 000000005524: D3D9408D 18000080
	v_mov_b32_e32 v209, 0                                      // 00000000552C: 7FA20280
	v_accvgpr_write_b32 a142, 0                                // 000000005530: D3D9408E 18000080
	v_mov_b32_e32 v210, 0                                      // 000000005538: 7FA40280
	v_accvgpr_write_b32 a143, 0                                // 00000000553C: D3D9408F 18000080
	v_mov_b32_e32 v211, 0                                      // 000000005544: 7FA60280
	v_accvgpr_write_b32 a144, 0                                // 000000005548: D3D94090 18000080
	v_mov_b32_e32 v212, 0                                      // 000000005550: 7FA80280
	v_accvgpr_write_b32 a145, 0                                // 000000005554: D3D94091 18000080
	v_mov_b32_e32 v213, 0                                      // 00000000555C: 7FAA0280
	v_accvgpr_write_b32 a146, 0                                // 000000005560: D3D94092 18000080
	v_mov_b32_e32 v214, 0                                      // 000000005568: 7FAC0280
	v_accvgpr_write_b32 a147, 0                                // 00000000556C: D3D94093 18000080
	v_mov_b32_e32 v215, 0                                      // 000000005574: 7FAE0280
	v_accvgpr_write_b32 a148, 0                                // 000000005578: D3D94094 18000080
	v_mov_b32_e32 v216, 0                                      // 000000005580: 7FB00280
	v_accvgpr_write_b32 a149, 0                                // 000000005584: D3D94095 18000080
	v_mov_b32_e32 v217, 0                                      // 00000000558C: 7FB20280
	v_accvgpr_write_b32 a150, 0                                // 000000005590: D3D94096 18000080
	v_mov_b32_e32 v218, 0                                      // 000000005598: 7FB40280
	v_accvgpr_write_b32 a151, 0                                // 00000000559C: D3D94097 18000080
	v_mov_b32_e32 v219, 0                                      // 0000000055A4: 7FB60280
	v_accvgpr_write_b32 a152, 0                                // 0000000055A8: D3D94098 18000080
	v_mov_b32_e32 v220, 0                                      // 0000000055B0: 7FB80280
	v_accvgpr_write_b32 a153, 0                                // 0000000055B4: D3D94099 18000080
	v_mov_b32_e32 v221, 0                                      // 0000000055BC: 7FBA0280
	v_accvgpr_write_b32 a154, 0                                // 0000000055C0: D3D9409A 18000080
	v_mov_b32_e32 v222, 0                                      // 0000000055C8: 7FBC0280
	v_accvgpr_write_b32 a155, 0                                // 0000000055CC: D3D9409B 18000080
	v_mov_b32_e32 v223, 0                                      // 0000000055D4: 7FBE0280
	v_accvgpr_write_b32 a156, 0                                // 0000000055D8: D3D9409C 18000080
	v_mov_b32_e32 v224, 0                                      // 0000000055E0: 7FC00280
	v_accvgpr_write_b32 a157, 0                                // 0000000055E4: D3D9409D 18000080
	v_mov_b32_e32 v225, 0                                      // 0000000055EC: 7FC20280
	v_accvgpr_write_b32 a158, 0                                // 0000000055F0: D3D9409E 18000080
	v_mov_b32_e32 v226, 0                                      // 0000000055F8: 7FC40280
	v_accvgpr_write_b32 a159, 0                                // 0000000055FC: D3D9409F 18000080
	v_mov_b32_e32 v227, 0                                      // 000000005604: 7FC60280
	v_mov_b32_e32 v156, 0                                      // 000000005608: 7F380280
	v_mov_b32_e32 v157, 0                                      // 00000000560C: 7F3A0280
	v_mov_b32_e32 v158, 0                                      // 000000005610: 7F3C0280
	v_mov_b32_e32 v159, 0                                      // 000000005614: 7F3E0280
	v_mov_b32_e32 v160, 0                                      // 000000005618: 7F400280
	v_mov_b32_e32 v161, 0                                      // 00000000561C: 7F420280
	v_mov_b32_e32 v162, 0                                      // 000000005620: 7F440280
	v_mov_b32_e32 v163, 0                                      // 000000005624: 7F460280
	v_mov_b32_e32 v148, 0                                      // 000000005628: 7F280280
	v_mov_b32_e32 v149, 0                                      // 00000000562C: 7F2A0280
	v_mov_b32_e32 v150, 0                                      // 000000005630: 7F2C0280
	v_mov_b32_e32 v151, 0                                      // 000000005634: 7F2E0280
	v_mov_b32_e32 v152, 0                                      // 000000005638: 7F300280
	v_mov_b32_e32 v153, 0                                      // 00000000563C: 7F320280
	v_mov_b32_e32 v154, 0                                      // 000000005640: 7F340280
	v_mov_b32_e32 v155, 0                                      // 000000005644: 7F360280
	s_waitcnt lgkmcnt(0)                                       // 000000005648: BF8CC07F
	s_barrier                                                  // 00000000564C: BF8A0000
	buffer_load_dword v36, v1, s[8:11], 0 idxen                // 000000005650: E0502000 80022401
	buffer_load_dword v37, v2, s[8:11], 0 idxen                // 000000005658: E0502000 80022502
	;; [unrolled: 1-line block ×4, first 2 shown]
	buffer_load_dword v44, v232, s[20:23], 0 idxen             // 000000005670: E0502000 80052CE8
	buffer_load_dword v45, v233, s[20:23], 0 idxen             // 000000005678: E0502000 80052DE9
	buffer_load_dword v46, v234, s[20:23], 0 idxen             // 000000005680: E0502000 80052EEA
	buffer_load_dword v47, v235, s[20:23], 0 idxen             // 000000005688: E0502000 80052FEB
	buffer_load_dword v11, s[24:27], 0 idxen lds               // 000000005690: E0512000 8006000B
	s_add_u32 s60, 0x60, s59                                   // 000000005698: 803C3BFF 00000060
	s_cmp_lt_u32 s60, s58                                      // 0000000056A0: BF0A3A3C
	s_cselect_b32 s68, s68, 0                                  // 0000000056A4: 85448044
	s_cselect_b32 s100, s100, 0                                // 0000000056A8: 85648064
	s_cselect_b32 s69, s69, 0                                  // 0000000056AC: 85458045
	s_mov_b32 m0, s81                                          // 0000000056B0: BEFC0051
	v_add_u32_e32 v11, s69, v11                                // 0000000056B4: 68161645
	v_add_u32_e32 v1, s68, v1                                  // 0000000056B8: 68020244
	v_add_u32_e32 v2, s68, v2                                  // 0000000056BC: 68040444
	v_add_u32_e32 v3, s68, v3                                  // 0000000056C0: 68060644
	v_add_u32_e32 v4, s68, v4                                  // 0000000056C4: 68080844
	v_add_u32_e32 v232, s100, v232                             // 0000000056C8: 69D1D064
	v_add_u32_e32 v233, s100, v233                             // 0000000056CC: 69D3D264
	v_add_u32_e32 v234, s100, v234                             // 0000000056D0: 69D5D464
	v_add_u32_e32 v235, s100, v235                             // 0000000056D4: 69D7D664
	v_mul_f32_e32 v140, s48, v140                              // 0000000056D8: 0B191830
	v_mul_f32_e32 v144, s48, v144                              // 0000000056DC: 0B212030
	v_perm_b32 v100, v41, v40, s63                             // 0000000056E0: D1ED0064 00FE5129
	v_perm_b32 v101, v41, v40, s64                             // 0000000056E8: D1ED0065 01025129
	v_perm_b32 v102, v43, v42, s63                             // 0000000056F0: D1ED0066 00FE552B
	v_perm_b32 v103, v43, v42, s64                             // 0000000056F8: D1ED0067 0102552B
	v_perm_b32 v104, v49, v48, s63                             // 000000005700: D1ED0068 00FE6131
	v_perm_b32 v105, v49, v48, s64                             // 000000005708: D1ED0069 01026131
	v_perm_b32 v106, v51, v50, s63                             // 000000005710: D1ED006A 00FE6533
	v_perm_b32 v107, v51, v50, s64                             // 000000005718: D1ED006B 01026533
	v_mov_b32_dpp v143, v140 quad_perm:[3,3,3,3] row_mask:0xf bank_mask:0xf// 000000005720: 7F1E02FA FF00FF8C
	v_mov_b32_dpp v142, v140 quad_perm:[2,2,2,2] row_mask:0xf bank_mask:0xf// 000000005728: 7F1C02FA FF00AA8C
	v_mov_b32_dpp v141, v140 quad_perm:[1,1,1,1] row_mask:0xf bank_mask:0xf// 000000005730: 7F1A02FA FF00558C
	v_mov_b32_dpp v140, v140 quad_perm:[0,0,0,0] row_mask:0xf bank_mask:0xf// 000000005738: 7F1802FA FF00008C
	v_mov_b32_dpp v147, v144 quad_perm:[3,3,3,3] row_mask:0xf bank_mask:0xf// 000000005740: 7F2602FA FF00FF90
	v_mov_b32_dpp v146, v144 quad_perm:[2,2,2,2] row_mask:0xf bank_mask:0xf// 000000005748: 7F2402FA FF00AA90
	v_mov_b32_dpp v145, v144 quad_perm:[1,1,1,1] row_mask:0xf bank_mask:0xf// 000000005750: 7F2202FA FF005590
	v_mov_b32_dpp v144, v144 quad_perm:[0,0,0,0] row_mask:0xf bank_mask:0xf// 000000005758: 7F2002FA FF000090
	s_waitcnt vmcnt(9)                                         // 000000005760: BF8C0F79
	s_barrier                                                  // 000000005764: BF8A0000
	s_cmp_lt_i32 s46, 2                                        // 000000005768: BF04822E
	s_cbranch_scc0 label_0EC8                                  // 00000000576C: BF84085A
	s_nop 0                                                    // 000000005770: BF800000
	s_nop 0                                                    // 000000005774: BF800000

0000000000005778 <label_065E>:
	s_waitcnt lgkmcnt(4)                                       // 000000005778: BF8CC47F
	s_barrier                                                  // 00000000577C: BF8A0000
	v_mfma_f32_16x16x16_bf16 v[52:55], a[96:97], a[0:1], 0     // 000000005780: D3E10034 1A020160
	ds_write_b32 v13, v48 offset:8704                          // 000000005788: D81A2200 0000300D
	ds_write_b32 v13, v49 offset:9760                          // 000000005790: D81A2620 0000310D
	v_mfma_f32_16x16x16_bf16 v[52:55], a[98:99], a[2:3], v[52:55]// 000000005798: D3E10034 1CD20562
	v_mul_f32_e32 v148, s47, v148                              // 0000000057A0: 0B29282F
	v_mul_f32_e32 v149, s47, v149                              // 0000000057A4: 0B2B2A2F
	v_mfma_f32_16x16x16_bf16 v[52:55], a[100:101], a[4:5], v[52:55]// 0000000057A8: D3E10034 1CD20964
	ds_write_b32 v13, v50 offset:10880                         // 0000000057B0: D81A2A80 0000320D
	ds_write_b32 v13, v51 offset:11936                         // 0000000057B8: D81A2EA0 0000330D
	v_mfma_f32_16x16x16_bf16 v[52:55], a[102:103], a[6:7], v[52:55]// 0000000057C0: D3E10034 1CD20D66
	v_mul_f32_e32 v150, s47, v150                              // 0000000057C8: 0B2D2C2F
	v_mul_f32_e32 v151, s47, v151                              // 0000000057CC: 0B2F2E2F
	v_mfma_f32_16x16x16_bf16 v[56:59], a[96:97], a[8:9], 0     // 0000000057D0: D3E10038 1A021160
	ds_write_b64 v22, v[148:149] offset:31232                  // 0000000057D8: D89A7A00 00009416
	v_mfma_f32_16x16x16_bf16 v[56:59], a[98:99], a[10:11], v[56:59]// 0000000057E0: D3E10038 1CE21562
	v_mul_f32_e32 v152, s47, v152                              // 0000000057E8: 0B31302F
	v_mul_f32_e32 v153, s47, v153                              // 0000000057EC: 0B33322F
	v_mfma_f32_16x16x16_bf16 v[56:59], a[100:101], a[12:13], v[56:59]// 0000000057F0: D3E10038 1CE21964
	ds_write_b64 v22, v[150:151] offset:31744                  // 0000000057F8: D89A7C00 00009616
	v_mfma_f32_16x16x16_bf16 v[56:59], a[102:103], a[14:15], v[56:59]// 000000005800: D3E10038 1CE21D66
	v_mul_f32_e32 v154, s47, v154                              // 000000005808: 0B35342F
	v_mul_f32_e32 v155, s47, v155                              // 00000000580C: 0B37362F
	v_mfma_f32_16x16x16_bf16 v[60:63], a[96:97], a[16:17], 0   // 000000005810: D3E1003C 1A022160
	ds_write_b64 v22, v[152:153] offset:32256                  // 000000005818: D89A7E00 00009816
	v_mfma_f32_16x16x16_bf16 v[60:63], a[98:99], a[18:19], v[60:63]// 000000005820: D3E1003C 1CF22562
	buffer_atomic_add_f32 v160, v8, s[32:35], 0 idxen          // 000000005828: E1342000 8008A008
	v_mfma_f32_16x16x16_bf16 v[60:63], a[100:101], a[20:21], v[60:63]// 000000005830: D3E1003C 1CF22964
	ds_write_b64 v22, v[154:155] offset:32768                  // 000000005838: D89A8000 00009A16
	v_mfma_f32_16x16x16_bf16 v[60:63], a[102:103], a[22:23], v[60:63]// 000000005840: D3E1003C 1CF22D66
	v_mfma_f32_16x16x16_bf16 v[64:67], a[104:105], a[0:1], 0   // 000000005848: D3E10040 1A020168
	ds_read_b128 v[124:127], v14 offset:13056                  // 000000005850: D9FE3300 7C00000E
	ds_write_b32 v13, v40                                      // 000000005858: D81A0000 0000280D
	v_mfma_f32_16x16x16_bf16 v[64:67], a[106:107], a[2:3], v[64:67]// 000000005860: D3E10040 1D02056A
	buffer_atomic_add_f32 v161, v9, s[32:35], 0 idxen          // 000000005868: E1342000 8008A109
	v_mfma_f32_16x16x16_bf16 v[64:67], a[108:109], a[4:5], v[64:67]// 000000005870: D3E10040 1D02096C
	v_mfma_f32_16x16x16_bf16 v[64:67], a[110:111], a[6:7], v[64:67]// 000000005878: D3E10040 1D020D6E
	ds_read_b128 v[128:131], v14 offset:13568                  // 000000005880: D9FE3500 8000000E
	ds_write_b32 v13, v41 offset:1056                          // 000000005888: D81A0420 0000290D
	v_mfma_f32_16x16x16_bf16 v[68:71], a[104:105], a[8:9], 0   // 000000005890: D3E10044 1A021168
	buffer_atomic_add_f32 v162, v8, s[32:35], 0 idxen offset:128// 000000005898: E1342080 8008A208
	v_mfma_f32_16x16x16_bf16 v[68:71], a[106:107], a[10:11], v[68:71]// 0000000058A0: D3E10044 1D12156A
	v_mfma_f32_16x16x16_bf16 v[68:71], a[108:109], a[12:13], v[68:71]// 0000000058A8: D3E10044 1D12196C
	ds_read_b128 v[132:135], v14 offset:15232                  // 0000000058B0: D9FE3B80 8400000E
	ds_write_b32 v13, v42 offset:2176                          // 0000000058B8: D81A0880 00002A0D
	v_mfma_f32_16x16x16_bf16 v[68:71], a[110:111], a[14:15], v[68:71]// 0000000058C0: D3E10044 1D121D6E
	v_mfma_f32_16x16x16_bf16 v[72:75], a[104:105], a[16:17], 0 // 0000000058C8: D3E10048 1A022168
	buffer_atomic_add_f32 v163, v9, s[32:35], 0 idxen offset:128// 0000000058D0: E1342080 8008A309
	v_mfma_f32_16x16x16_bf16 v[72:75], a[106:107], a[18:19], v[72:75]// 0000000058D8: D3E10048 1D22256A
	ds_read_b128 v[136:139], v14 offset:15744                  // 0000000058E0: D9FE3D80 8800000E
	ds_write_b32 v13, v43 offset:3232                          // 0000000058E8: D81A0CA0 00002B0D
	v_mfma_f32_16x16x16_bf16 v[72:75], a[108:109], a[20:21], v[72:75]// 0000000058F0: D3E10048 1D22296C
	v_mfma_f32_16x16x16_bf16 v[72:75], a[110:111], a[22:23], v[72:75]// 0000000058F8: D3E10048 1D222D6E
	s_cmp_lt_i32 s74, 12                                       // 000000005900: BF048C4A
	s_cbranch_scc0 label_07A8                                  // 000000005904: BF8400E6
	s_mov_b32 s60, 0xffe0fffe                                  // 000000005908: BEBC00FF FFE0FFFE
	s_mov_b32 s61, 0xe000fe00                                  // 000000005910: BEBD00FF E000FE00
	s_nop 0                                                    // 000000005918: BF800000
	s_add_u32 s62, 0, s46                                      // 00000000591C: 803E2E80
	s_cmp_lt_i32 s74, s62                                      // 000000005920: BF043E4A
	s_cbranch_scc1 label_06F2                                  // 000000005924: BF850028
	s_cmp_eq_i32 s74, s62                                      // 000000005928: BF003E4A
	s_cbranch_scc1 label_06D7                                  // 00000000592C: BF85000B
	s_add_u32 s62, 4, s46                                      // 000000005930: 803E2E84
	s_cmp_lt_i32 s74, s62                                      // 000000005934: BF043E4A
	s_cbranch_scc1 label_0712                                  // 000000005938: BF850043
	s_cmp_eq_i32 s74, s62                                      // 00000000593C: BF003E4A
	s_cbranch_scc1 label_06F7                                  // 000000005940: BF850026
	s_add_u32 s62, 8, s46                                      // 000000005944: 803E2E88
	s_cmp_lt_i32 s74, s62                                      // 000000005948: BF043E4A
	s_cbranch_scc1 label_0732                                  // 00000000594C: BF85005E
	s_cmp_eq_i32 s74, s62                                      // 000000005950: BF003E4A
	s_cbranch_scc1 label_0717                                  // 000000005954: BF850041
	s_branch label_0737                                        // 000000005958: BF820060

000000000000595c <label_06D7>:
	v_cndmask_b32_e64 v52, v52, v178, s[60:61]                 // 00000000595C: D1000034 00F36534
	s_lshl_b32 s60, s60, 1                                     // 000000005964: 8E3C813C
	s_lshl_b32 s61, s61, 1                                     // 000000005968: 8E3D813D
	s_and_b32 s60, 0xfffeffff, s60                             // 00000000596C: 863C3CFF FFFEFFFF
	s_and_b32 s61, 0xfffeffff, s61                             // 000000005974: 863D3DFF FFFEFFFF
	v_cndmask_b32_e64 v53, v53, v178, s[60:61]                 // 00000000597C: D1000035 00F36535
	s_lshl_b32 s60, s60, 1                                     // 000000005984: 8E3C813C
	s_lshl_b32 s61, s61, 1                                     // 000000005988: 8E3D813D
	s_and_b32 s60, 0xfffeffff, s60                             // 00000000598C: 863C3CFF FFFEFFFF
	s_and_b32 s61, 0xfffeffff, s61                             // 000000005994: 863D3DFF FFFEFFFF
	v_cndmask_b32_e64 v54, v54, v178, s[60:61]                 // 00000000599C: D1000036 00F36536
	s_lshl_b32 s60, s60, 1                                     // 0000000059A4: 8E3C813C
	s_lshl_b32 s61, s61, 1                                     // 0000000059A8: 8E3D813D
	s_and_b32 s60, 0xfffeffff, s60                             // 0000000059AC: 863C3CFF FFFEFFFF
	s_and_b32 s61, 0xfffeffff, s61                             // 0000000059B4: 863D3DFF FFFEFFFF
	v_cndmask_b32_e64 v55, v55, v178, s[60:61]                 // 0000000059BC: D1000037 00F36537
	s_branch label_0712                                        // 0000000059C4: BF820020

00000000000059c8 <label_06F2>:
	v_mov_b32_e32 v52, v178                                    // 0000000059C8: 7E6803B2
	v_mov_b32_e32 v53, v178                                    // 0000000059CC: 7E6A03B2
	v_mov_b32_e32 v54, v178                                    // 0000000059D0: 7E6C03B2
	v_mov_b32_e32 v55, v178                                    // 0000000059D4: 7E6E03B2
	s_branch label_0712                                        // 0000000059D8: BF82001B

00000000000059dc <label_06F7>:
	v_cndmask_b32_e64 v56, v56, v178, s[60:61]                 // 0000000059DC: D1000038 00F36538
	s_lshl_b32 s60, s60, 1                                     // 0000000059E4: 8E3C813C
	s_lshl_b32 s61, s61, 1                                     // 0000000059E8: 8E3D813D
	s_and_b32 s60, 0xfffeffff, s60                             // 0000000059EC: 863C3CFF FFFEFFFF
	s_and_b32 s61, 0xfffeffff, s61                             // 0000000059F4: 863D3DFF FFFEFFFF
	v_cndmask_b32_e64 v57, v57, v178, s[60:61]                 // 0000000059FC: D1000039 00F36539
	s_lshl_b32 s60, s60, 1                                     // 000000005A04: 8E3C813C
	s_lshl_b32 s61, s61, 1                                     // 000000005A08: 8E3D813D
	s_and_b32 s60, 0xfffeffff, s60                             // 000000005A0C: 863C3CFF FFFEFFFF
	s_and_b32 s61, 0xfffeffff, s61                             // 000000005A14: 863D3DFF FFFEFFFF
	v_cndmask_b32_e64 v58, v58, v178, s[60:61]                 // 000000005A1C: D100003A 00F3653A
	s_lshl_b32 s60, s60, 1                                     // 000000005A24: 8E3C813C
	s_lshl_b32 s61, s61, 1                                     // 000000005A28: 8E3D813D
	s_and_b32 s60, 0xfffeffff, s60                             // 000000005A2C: 863C3CFF FFFEFFFF
	s_and_b32 s61, 0xfffeffff, s61                             // 000000005A34: 863D3DFF FFFEFFFF
	v_cndmask_b32_e64 v59, v59, v178, s[60:61]                 // 000000005A3C: D100003B 00F3653B
	s_branch label_0732                                        // 000000005A44: BF820020

0000000000005a48 <label_0712>:
	v_mov_b32_e32 v56, v178                                    // 000000005A48: 7E7003B2
	v_mov_b32_e32 v57, v178                                    // 000000005A4C: 7E7203B2
	v_mov_b32_e32 v58, v178                                    // 000000005A50: 7E7403B2
	v_mov_b32_e32 v59, v178                                    // 000000005A54: 7E7603B2
	s_branch label_0732                                        // 000000005A58: BF82001B

0000000000005a5c <label_0717>:
	v_cndmask_b32_e64 v60, v60, v178, s[60:61]                 // 000000005A5C: D100003C 00F3653C
	s_lshl_b32 s60, s60, 1                                     // 000000005A64: 8E3C813C
	s_lshl_b32 s61, s61, 1                                     // 000000005A68: 8E3D813D
	s_and_b32 s60, 0xfffeffff, s60                             // 000000005A6C: 863C3CFF FFFEFFFF
	s_and_b32 s61, 0xfffeffff, s61                             // 000000005A74: 863D3DFF FFFEFFFF
	v_cndmask_b32_e64 v61, v61, v178, s[60:61]                 // 000000005A7C: D100003D 00F3653D
	s_lshl_b32 s60, s60, 1                                     // 000000005A84: 8E3C813C
	s_lshl_b32 s61, s61, 1                                     // 000000005A88: 8E3D813D
	s_and_b32 s60, 0xfffeffff, s60                             // 000000005A8C: 863C3CFF FFFEFFFF
	s_and_b32 s61, 0xfffeffff, s61                             // 000000005A94: 863D3DFF FFFEFFFF
	v_cndmask_b32_e64 v62, v62, v178, s[60:61]                 // 000000005A9C: D100003E 00F3653E
	s_lshl_b32 s60, s60, 1                                     // 000000005AA4: 8E3C813C
	s_lshl_b32 s61, s61, 1                                     // 000000005AA8: 8E3D813D
	s_and_b32 s60, 0xfffeffff, s60                             // 000000005AAC: 863C3CFF FFFEFFFF
	s_and_b32 s61, 0xfffeffff, s61                             // 000000005AB4: 863D3DFF FFFEFFFF
	v_cndmask_b32_e64 v63, v63, v178, s[60:61]                 // 000000005ABC: D100003F 00F3653F
	s_branch label_0737                                        // 000000005AC4: BF820005

0000000000005ac8 <label_0732>:
	v_mov_b32_e32 v60, v178                                    // 000000005AC8: 7E7803B2
	v_mov_b32_e32 v61, v178                                    // 000000005ACC: 7E7A03B2
	v_mov_b32_e32 v62, v178                                    // 000000005AD0: 7E7C03B2
	v_mov_b32_e32 v63, v178                                    // 000000005AD4: 7E7E03B2
	s_branch label_0737                                        // 000000005AD8: BF820000

0000000000005adc <label_0737>:
	s_addk_i32 s74, 0x1                                        // 000000005ADC: B74A0001
	s_add_u32 s62, 0, s46                                      // 000000005AE0: 803E2E80
	s_cmp_lt_i32 s74, s62                                      // 000000005AE4: BF043E4A
	s_cbranch_scc1 label_0763                                  // 000000005AE8: BF850028
	s_cmp_eq_i32 s74, s62                                      // 000000005AEC: BF003E4A
	s_cbranch_scc1 label_0748                                  // 000000005AF0: BF85000B
	s_add_u32 s62, 4, s46                                      // 000000005AF4: 803E2E84
	s_cmp_lt_i32 s74, s62                                      // 000000005AF8: BF043E4A
	s_cbranch_scc1 label_0783                                  // 000000005AFC: BF850043
	s_cmp_eq_i32 s74, s62                                      // 000000005B00: BF003E4A
	s_cbranch_scc1 label_0768                                  // 000000005B04: BF850026
	s_add_u32 s62, 8, s46                                      // 000000005B08: 803E2E88
	s_cmp_lt_i32 s74, s62                                      // 000000005B0C: BF043E4A
	s_cbranch_scc1 label_07A3                                  // 000000005B10: BF85005E
	s_cmp_eq_i32 s74, s62                                      // 000000005B14: BF003E4A
	s_cbranch_scc1 label_0788                                  // 000000005B18: BF850041
	s_branch label_07A8                                        // 000000005B1C: BF820060

0000000000005b20 <label_0748>:
	v_cndmask_b32_e64 v64, v64, v178, s[60:61]                 // 000000005B20: D1000040 00F36540
	s_lshl_b32 s60, s60, 1                                     // 000000005B28: 8E3C813C
	s_lshl_b32 s61, s61, 1                                     // 000000005B2C: 8E3D813D
	s_and_b32 s60, 0xfffeffff, s60                             // 000000005B30: 863C3CFF FFFEFFFF
	s_and_b32 s61, 0xfffeffff, s61                             // 000000005B38: 863D3DFF FFFEFFFF
	v_cndmask_b32_e64 v65, v65, v178, s[60:61]                 // 000000005B40: D1000041 00F36541
	s_lshl_b32 s60, s60, 1                                     // 000000005B48: 8E3C813C
	s_lshl_b32 s61, s61, 1                                     // 000000005B4C: 8E3D813D
	s_and_b32 s60, 0xfffeffff, s60                             // 000000005B50: 863C3CFF FFFEFFFF
	s_and_b32 s61, 0xfffeffff, s61                             // 000000005B58: 863D3DFF FFFEFFFF
	v_cndmask_b32_e64 v66, v66, v178, s[60:61]                 // 000000005B60: D1000042 00F36542
	s_lshl_b32 s60, s60, 1                                     // 000000005B68: 8E3C813C
	s_lshl_b32 s61, s61, 1                                     // 000000005B6C: 8E3D813D
	s_and_b32 s60, 0xfffeffff, s60                             // 000000005B70: 863C3CFF FFFEFFFF
	s_and_b32 s61, 0xfffeffff, s61                             // 000000005B78: 863D3DFF FFFEFFFF
	v_cndmask_b32_e64 v67, v67, v178, s[60:61]                 // 000000005B80: D1000043 00F36543
	s_branch label_0783                                        // 000000005B88: BF820020

0000000000005b8c <label_0763>:
	v_mov_b32_e32 v64, v178                                    // 000000005B8C: 7E8003B2
	v_mov_b32_e32 v65, v178                                    // 000000005B90: 7E8203B2
	v_mov_b32_e32 v66, v178                                    // 000000005B94: 7E8403B2
	v_mov_b32_e32 v67, v178                                    // 000000005B98: 7E8603B2
	s_branch label_0783                                        // 000000005B9C: BF82001B

0000000000005ba0 <label_0768>:
	v_cndmask_b32_e64 v68, v68, v178, s[60:61]                 // 000000005BA0: D1000044 00F36544
	s_lshl_b32 s60, s60, 1                                     // 000000005BA8: 8E3C813C
	s_lshl_b32 s61, s61, 1                                     // 000000005BAC: 8E3D813D
	s_and_b32 s60, 0xfffeffff, s60                             // 000000005BB0: 863C3CFF FFFEFFFF
	s_and_b32 s61, 0xfffeffff, s61                             // 000000005BB8: 863D3DFF FFFEFFFF
	v_cndmask_b32_e64 v69, v69, v178, s[60:61]                 // 000000005BC0: D1000045 00F36545
	s_lshl_b32 s60, s60, 1                                     // 000000005BC8: 8E3C813C
	s_lshl_b32 s61, s61, 1                                     // 000000005BCC: 8E3D813D
	s_and_b32 s60, 0xfffeffff, s60                             // 000000005BD0: 863C3CFF FFFEFFFF
	s_and_b32 s61, 0xfffeffff, s61                             // 000000005BD8: 863D3DFF FFFEFFFF
	v_cndmask_b32_e64 v70, v70, v178, s[60:61]                 // 000000005BE0: D1000046 00F36546
	s_lshl_b32 s60, s60, 1                                     // 000000005BE8: 8E3C813C
	s_lshl_b32 s61, s61, 1                                     // 000000005BEC: 8E3D813D
	s_and_b32 s60, 0xfffeffff, s60                             // 000000005BF0: 863C3CFF FFFEFFFF
	s_and_b32 s61, 0xfffeffff, s61                             // 000000005BF8: 863D3DFF FFFEFFFF
	v_cndmask_b32_e64 v71, v71, v178, s[60:61]                 // 000000005C00: D1000047 00F36547
	s_branch label_07A3                                        // 000000005C08: BF820020

0000000000005c0c <label_0783>:
	v_mov_b32_e32 v68, v178                                    // 000000005C0C: 7E8803B2
	v_mov_b32_e32 v69, v178                                    // 000000005C10: 7E8A03B2
	v_mov_b32_e32 v70, v178                                    // 000000005C14: 7E8C03B2
	v_mov_b32_e32 v71, v178                                    // 000000005C18: 7E8E03B2
	s_branch label_07A3                                        // 000000005C1C: BF82001B

0000000000005c20 <label_0788>:
	v_cndmask_b32_e64 v72, v72, v178, s[60:61]                 // 000000005C20: D1000048 00F36548
	s_lshl_b32 s60, s60, 1                                     // 000000005C28: 8E3C813C
	s_lshl_b32 s61, s61, 1                                     // 000000005C2C: 8E3D813D
	s_and_b32 s60, 0xfffeffff, s60                             // 000000005C30: 863C3CFF FFFEFFFF
	s_and_b32 s61, 0xfffeffff, s61                             // 000000005C38: 863D3DFF FFFEFFFF
	v_cndmask_b32_e64 v73, v73, v178, s[60:61]                 // 000000005C40: D1000049 00F36549
	s_lshl_b32 s60, s60, 1                                     // 000000005C48: 8E3C813C
	s_lshl_b32 s61, s61, 1                                     // 000000005C4C: 8E3D813D
	s_and_b32 s60, 0xfffeffff, s60                             // 000000005C50: 863C3CFF FFFEFFFF
	s_and_b32 s61, 0xfffeffff, s61                             // 000000005C58: 863D3DFF FFFEFFFF
	v_cndmask_b32_e64 v74, v74, v178, s[60:61]                 // 000000005C60: D100004A 00F3654A
	s_lshl_b32 s60, s60, 1                                     // 000000005C68: 8E3C813C
	s_lshl_b32 s61, s61, 1                                     // 000000005C6C: 8E3D813D
	s_and_b32 s60, 0xfffeffff, s60                             // 000000005C70: 863C3CFF FFFEFFFF
	s_and_b32 s61, 0xfffeffff, s61                             // 000000005C78: 863D3DFF FFFEFFFF
	v_cndmask_b32_e64 v75, v75, v178, s[60:61]                 // 000000005C80: D100004B 00F3654B
	s_branch label_07A8                                        // 000000005C88: BF820005

0000000000005c8c <label_07A3>:
	v_mov_b32_e32 v72, v178                                    // 000000005C8C: 7E9003B2
	v_mov_b32_e32 v73, v178                                    // 000000005C90: 7E9203B2
	v_mov_b32_e32 v74, v178                                    // 000000005C94: 7E9403B2
	v_mov_b32_e32 v75, v178                                    // 000000005C98: 7E9603B2
	s_branch label_07A8                                        // 000000005C9C: BF820000

0000000000005ca0 <label_07A8>:
	s_cmp_lt_i32 s84, 0xc0                                     // 000000005CA0: BF04FF54 000000C0
	s_cbranch_scc0 label_0821                                  // 000000005CA8: BF84006D
	s_cmp_le_i32 s84, 64                                       // 000000005CAC: BF05C054
	s_cbranch_scc1 label_07B4                                  // 000000005CB0: BF850007
	s_cmp_le_i32 s84, 0x80                                     // 000000005CB4: BF05FF54 00000080
	s_cbranch_scc1 label_07D8                                  // 000000005CBC: BF85001F
	s_cmp_lt_i32 s84, 0xc0                                     // 000000005CC0: BF04FF54 000000C0
	s_cbranch_scc1 label_07FC                                  // 000000005CC8: BF850040
	s_branch label_0821                                        // 000000005CCC: BF820064

0000000000005cd0 <label_07B4>:
	s_mov_b32 s60, 0                                           // 000000005CD0: BEBC0080
	v_and_b32_e32 v32, 15, v0                                  // 000000005CD4: 2640008F
	v_add_u32_e64 v32, v32, s60                                // 000000005CD8: D1340020 00007920
	v_mul_i32_i24_e64 v33, s46, 16                             // 000000005CE0: D1060021 0001202E
	v_add_u32_e32 v32, v32, v33                                // 000000005CE8: 68404320
	v_cmp_lt_u32_e64 s[60:61], v32, s84                        // 000000005CEC: D0C9003C 0000A920
	s_nop 1                                                    // 000000005CF4: BF800001
	v_cndmask_b32_e64 v52, v178, v52, s[60:61]                 // 000000005CF8: D1000034 00F269B2
	v_cndmask_b32_e64 v64, v178, v64, s[60:61]                 // 000000005D00: D1000040 00F281B2
	v_cndmask_b32_e64 v53, v178, v53, s[60:61]                 // 000000005D08: D1000035 00F26BB2
	v_cndmask_b32_e64 v65, v178, v65, s[60:61]                 // 000000005D10: D1000041 00F283B2
	v_cndmask_b32_e64 v54, v178, v54, s[60:61]                 // 000000005D18: D1000036 00F26DB2
	v_cndmask_b32_e64 v66, v178, v66, s[60:61]                 // 000000005D20: D1000042 00F285B2
	v_cndmask_b32_e64 v55, v178, v55, s[60:61]                 // 000000005D28: D1000037 00F26FB2
	v_cndmask_b32_e64 v67, v178, v67, s[60:61]                 // 000000005D30: D1000043 00F287B2
	s_branch label_07F3                                        // 000000005D38: BF82001B

0000000000005d3c <label_07D8>:
	s_mov_b32 s60, 64                                          // 000000005D3C: BEBC00C0
	v_and_b32_e32 v32, 15, v0                                  // 000000005D40: 2640008F
	v_add_u32_e64 v32, v32, s60                                // 000000005D44: D1340020 00007920
	v_mul_i32_i24_e64 v33, s46, 16                             // 000000005D4C: D1060021 0001202E
	v_add_u32_e32 v32, v32, v33                                // 000000005D54: 68404320
	v_cmp_lt_u32_e64 s[60:61], v32, s84                        // 000000005D58: D0C9003C 0000A920
	s_nop 1                                                    // 000000005D60: BF800001
	v_cndmask_b32_e64 v56, v178, v56, s[60:61]                 // 000000005D64: D1000038 00F271B2
	v_cndmask_b32_e64 v68, v178, v68, s[60:61]                 // 000000005D6C: D1000044 00F289B2
	v_cndmask_b32_e64 v57, v178, v57, s[60:61]                 // 000000005D74: D1000039 00F273B2
	v_cndmask_b32_e64 v69, v178, v69, s[60:61]                 // 000000005D7C: D1000045 00F28BB2
	v_cndmask_b32_e64 v58, v178, v58, s[60:61]                 // 000000005D84: D100003A 00F275B2
	v_cndmask_b32_e64 v70, v178, v70, s[60:61]                 // 000000005D8C: D1000046 00F28DB2
	v_cndmask_b32_e64 v59, v178, v59, s[60:61]                 // 000000005D94: D100003B 00F277B2
	v_cndmask_b32_e64 v71, v178, v71, s[60:61]                 // 000000005D9C: D1000047 00F28FB2
	s_branch label_0818                                        // 000000005DA4: BF820025

0000000000005da8 <label_07F3>:
	v_mov_b32_e32 v56, v178                                    // 000000005DA8: 7E7003B2
	v_mov_b32_e32 v68, v178                                    // 000000005DAC: 7E8803B2
	v_mov_b32_e32 v57, v178                                    // 000000005DB0: 7E7203B2
	v_mov_b32_e32 v69, v178                                    // 000000005DB4: 7E8A03B2
	v_mov_b32_e32 v58, v178                                    // 000000005DB8: 7E7403B2
	v_mov_b32_e32 v70, v178                                    // 000000005DBC: 7E8C03B2
	v_mov_b32_e32 v59, v178                                    // 000000005DC0: 7E7603B2
	v_mov_b32_e32 v71, v178                                    // 000000005DC4: 7E8E03B2
	s_branch label_0818                                        // 000000005DC8: BF82001C

0000000000005dcc <label_07FC>:
	s_mov_b32 s60, 0x80                                        // 000000005DCC: BEBC00FF 00000080
	v_and_b32_e32 v32, 15, v0                                  // 000000005DD4: 2640008F
	v_add_u32_e64 v32, v32, s60                                // 000000005DD8: D1340020 00007920
	v_mul_i32_i24_e64 v33, s46, 16                             // 000000005DE0: D1060021 0001202E
	v_add_u32_e32 v32, v32, v33                                // 000000005DE8: 68404320
	v_cmp_lt_u32_e64 s[60:61], v32, s84                        // 000000005DEC: D0C9003C 0000A920
	s_nop 1                                                    // 000000005DF4: BF800001
	v_cndmask_b32_e64 v60, v178, v60, s[60:61]                 // 000000005DF8: D100003C 00F279B2
	v_cndmask_b32_e64 v72, v178, v72, s[60:61]                 // 000000005E00: D1000048 00F291B2
	v_cndmask_b32_e64 v61, v178, v61, s[60:61]                 // 000000005E08: D100003D 00F27BB2
	v_cndmask_b32_e64 v73, v178, v73, s[60:61]                 // 000000005E10: D1000049 00F293B2
	v_cndmask_b32_e64 v62, v178, v62, s[60:61]                 // 000000005E18: D100003E 00F27DB2
	v_cndmask_b32_e64 v74, v178, v74, s[60:61]                 // 000000005E20: D100004A 00F295B2
	v_cndmask_b32_e64 v63, v178, v63, s[60:61]                 // 000000005E28: D100003F 00F27FB2
	v_cndmask_b32_e64 v75, v178, v75, s[60:61]                 // 000000005E30: D100004B 00F297B2
	s_branch label_0821                                        // 000000005E38: BF820009

0000000000005e3c <label_0818>:
	v_mov_b32_e32 v60, v178                                    // 000000005E3C: 7E7803B2
	v_mov_b32_e32 v72, v178                                    // 000000005E40: 7E9003B2
	v_mov_b32_e32 v61, v178                                    // 000000005E44: 7E7A03B2
	v_mov_b32_e32 v73, v178                                    // 000000005E48: 7E9203B2
	v_mov_b32_e32 v62, v178                                    // 000000005E4C: 7E7C03B2
	v_mov_b32_e32 v74, v178                                    // 000000005E50: 7E9403B2
	v_mov_b32_e32 v63, v178                                    // 000000005E54: 7E7E03B2
	v_mov_b32_e32 v75, v178                                    // 000000005E58: 7E9603B2
	s_branch label_0821                                        // 000000005E5C: BF820000

0000000000005e60 <label_0821>:
	s_addk_i32 s74, 0x1                                        // 000000005E60: B74A0001
	s_waitcnt lgkmcnt(8)                                       // 000000005E64: BF8CC87F
	s_barrier                                                  // 000000005E68: BF8A0000
	v_mfma_f32_16x16x16_bf16 v[76:79], v[108:109], a[72:73], 0 // 000000005E6C: D3E1004C 1202916C
	ds_read_b128 a[96:99], v14 offset:4352                     // 000000005E74: DBFE1100 6000000E
	ds_read_b128 a[100:103], v14 offset:4864                   // 000000005E7C: DBFE1300 6400000E
	v_mfma_f32_16x16x16_bf16 v[76:79], v[110:111], a[74:75], v[76:79]// 000000005E84: D3E1004C 1532956E
	v_fma_f32 v52, v52, s57, -v140                             // 000000005E8C: D1CB0034 86307334
	v_fma_f32 v53, v53, s57, -v141                             // 000000005E94: D1CB0035 86347335
	v_fma_f32 v54, v54, s57, -v142                             // 000000005E9C: D1CB0036 86387336
	v_fma_f32 v55, v55, s57, -v143                             // 000000005EA4: D1CB0037 863C7337
	v_fma_f32 v56, v56, s57, -v140                             // 000000005EAC: D1CB0038 86307338
	v_fma_f32 v57, v57, s57, -v141                             // 000000005EB4: D1CB0039 86347339
	v_mfma_f32_16x16x16_bf16 v[76:79], v[112:113], a[76:77], v[76:79]// 000000005EBC: D3E1004C 15329970
	v_fma_f32 v58, v58, s57, -v142                             // 000000005EC4: D1CB003A 8638733A
	v_fma_f32 v59, v59, s57, -v143                             // 000000005ECC: D1CB003B 863C733B
	v_fma_f32 v60, v60, s57, -v140                             // 000000005ED4: D1CB003C 8630733C
	v_fma_f32 v61, v61, s57, -v141                             // 000000005EDC: D1CB003D 8634733D
	v_fma_f32 v62, v62, s57, -v142                             // 000000005EE4: D1CB003E 8638733E
	v_fma_f32 v63, v63, s57, -v143                             // 000000005EEC: D1CB003F 863C733F
	v_mfma_f32_16x16x16_bf16 v[76:79], v[114:115], a[78:79], v[76:79]// 000000005EF4: D3E1004C 15329D72
	v_fma_f32 v64, v64, s57, -v144                             // 000000005EFC: D1CB0040 86407340
	v_fma_f32 v65, v65, s57, -v145                             // 000000005F04: D1CB0041 86447341
	v_fma_f32 v66, v66, s57, -v146                             // 000000005F0C: D1CB0042 86487342
	v_fma_f32 v67, v67, s57, -v147                             // 000000005F14: D1CB0043 864C7343
	v_fma_f32 v68, v68, s57, -v144                             // 000000005F1C: D1CB0044 86407344
	v_fma_f32 v69, v69, s57, -v145                             // 000000005F24: D1CB0045 86447345
	v_mfma_f32_16x16x16_bf16 v[80:83], v[108:109], a[80:81], 0 // 000000005F2C: D3E10050 1202A16C
	ds_read_b128 a[104:107], v14 offset:6528                   // 000000005F34: DBFE1980 6800000E
	ds_read_b128 a[108:111], v14 offset:7040                   // 000000005F3C: DBFE1B80 6C00000E
	v_mfma_f32_16x16x16_bf16 v[80:83], v[110:111], a[82:83], v[80:83]// 000000005F44: D3E10050 1542A56E
	v_fma_f32 v70, v70, s57, -v146                             // 000000005F4C: D1CB0046 86487346
	v_fma_f32 v71, v71, s57, -v147                             // 000000005F54: D1CB0047 864C7347
	v_fma_f32 v72, v72, s57, -v144                             // 000000005F5C: D1CB0048 86407348
	v_fma_f32 v73, v73, s57, -v145                             // 000000005F64: D1CB0049 86447349
	v_fma_f32 v74, v74, s57, -v146                             // 000000005F6C: D1CB004A 8648734A
	v_fma_f32 v75, v75, s57, -v147                             // 000000005F74: D1CB004B 864C734B
	v_mfma_f32_16x16x16_bf16 v[80:83], v[112:113], a[84:85], v[80:83]// 000000005F7C: D3E10050 1542A970
	v_exp_f32_e32 v52, v52                                     // 000000005F84: 7E684134
	v_exp_f32_e32 v53, v53                                     // 000000005F88: 7E6A4135
	v_mfma_f32_16x16x16_bf16 v[80:83], v[114:115], a[86:87], v[80:83]// 000000005F8C: D3E10050 1542AD72
	v_exp_f32_e32 v54, v54                                     // 000000005F94: 7E6C4136
	v_exp_f32_e32 v55, v55                                     // 000000005F98: 7E6E4137
	v_mfma_f32_16x16x16_bf16 v[84:87], v[108:109], a[88:89], 0 // 000000005F9C: D3E10054 1202B16C
	ds_read_b64 v[156:157], v21 offset:31232                   // 000000005FA4: D8EC7A00 9C000015
	ds_read_b64 v[158:159], v21 offset:33280                   // 000000005FAC: D8EC8200 9E000015
	v_mfma_f32_16x16x16_bf16 v[84:87], v[110:111], a[90:91], v[84:87]// 000000005FB4: D3E10054 1552B56E
	v_exp_f32_e32 v56, v56                                     // 000000005FBC: 7E704138
	v_exp_f32_e32 v57, v57                                     // 000000005FC0: 7E724139
	v_mfma_f32_16x16x16_bf16 v[84:87], v[112:113], a[92:93], v[84:87]// 000000005FC4: D3E10054 1552B970
	ds_read_b64 v[160:161], v21 offset:35328                   // 000000005FCC: D8EC8A00 A0000015
	ds_read_b64 v[162:163], v21 offset:37376                   // 000000005FD4: D8EC9200 A2000015
	v_mfma_f32_16x16x16_bf16 v[84:87], v[114:115], a[94:95], v[84:87]// 000000005FDC: D3E10054 1552BD72
	v_exp_f32_e32 v58, v58                                     // 000000005FE4: 7E74413A
	v_exp_f32_e32 v59, v59                                     // 000000005FE8: 7E76413B
	v_mfma_f32_16x16x16_bf16 v[88:91], v[116:117], a[72:73], 0 // 000000005FEC: D3E10058 12029174
	v_exp_f32_e32 v60, v60                                     // 000000005FF4: 7E78413C
	v_exp_f32_e32 v61, v61                                     // 000000005FF8: 7E7A413D
	v_mfma_f32_16x16x16_bf16 v[88:91], v[118:119], a[74:75], v[88:91]// 000000005FFC: D3E10058 15629576
	v_exp_f32_e32 v62, v62                                     // 000000006004: 7E7C413E
	v_exp_f32_e32 v63, v63                                     // 000000006008: 7E7E413F
	v_mfma_f32_16x16x16_bf16 v[88:91], v[120:121], a[76:77], v[88:91]// 00000000600C: D3E10058 15629978
	v_exp_f32_e32 v64, v64                                     // 000000006014: 7E804140
	v_exp_f32_e32 v65, v65                                     // 000000006018: 7E824141
	v_mfma_f32_16x16x16_bf16 v[88:91], v[122:123], a[78:79], v[88:91]// 00000000601C: D3E10058 15629D7A
	v_exp_f32_e32 v66, v66                                     // 000000006024: 7E844142
	v_exp_f32_e32 v67, v67                                     // 000000006028: 7E864143
	v_mfma_f32_16x16x16_bf16 v[92:95], v[116:117], a[80:81], 0 // 00000000602C: D3E1005C 1202A174
	v_exp_f32_e32 v68, v68                                     // 000000006034: 7E884144
	v_exp_f32_e32 v69, v69                                     // 000000006038: 7E8A4145
	v_mfma_f32_16x16x16_bf16 v[92:95], v[118:119], a[82:83], v[92:95]// 00000000603C: D3E1005C 1572A576
	v_exp_f32_e32 v70, v70                                     // 000000006044: 7E8C4146
	v_exp_f32_e32 v71, v71                                     // 000000006048: 7E8E4147
	v_mfma_f32_16x16x16_bf16 v[92:95], v[120:121], a[84:85], v[92:95]// 00000000604C: D3E1005C 1572A978
	v_exp_f32_e32 v72, v72                                     // 000000006054: 7E904148
	v_exp_f32_e32 v73, v73                                     // 000000006058: 7E924149
	v_mfma_f32_16x16x16_bf16 v[92:95], v[122:123], a[86:87], v[92:95]// 00000000605C: D3E1005C 1572AD7A
	v_exp_f32_e32 v74, v74                                     // 000000006064: 7E94414A
	v_exp_f32_e32 v75, v75                                     // 000000006068: 7E96414B
	v_mfma_f32_16x16x16_bf16 v[96:99], v[116:117], a[88:89], 0 // 00000000606C: D3E10060 1202B174
	v_perm_b32 v164, v53, v52, s64                             // 000000006074: D1ED00A4 01026935
	v_perm_b32 v165, v55, v54, s64                             // 00000000607C: D1ED00A5 01026D37
	v_perm_b32 v166, v57, v56, s64                             // 000000006084: D1ED00A6 01027139
	v_perm_b32 v167, v59, v58, s64                             // 00000000608C: D1ED00A7 0102753B
	v_perm_b32 v168, v61, v60, s64                             // 000000006094: D1ED00A8 0102793D
	v_perm_b32 v169, v63, v62, s64                             // 00000000609C: D1ED00A9 01027D3F
	v_mfma_f32_16x16x16_bf16 v[96:99], v[118:119], a[90:91], v[96:99]// 0000000060A4: D3E10060 1582B576
	v_perm_b32 v170, v65, v64, s64                             // 0000000060AC: D1ED00AA 01028141
	v_perm_b32 v171, v67, v66, s64                             // 0000000060B4: D1ED00AB 01028543
	v_perm_b32 v172, v69, v68, s64                             // 0000000060BC: D1ED00AC 01028945
	v_perm_b32 v173, v71, v70, s64                             // 0000000060C4: D1ED00AD 01028D47
	v_perm_b32 v174, v73, v72, s64                             // 0000000060CC: D1ED00AE 01029149
	v_perm_b32 v175, v75, v74, s64                             // 0000000060D4: D1ED00AF 0102954B
	v_mfma_f32_16x16x16_bf16 v[96:99], v[120:121], a[92:93], v[96:99]// 0000000060DC: D3E10060 1582B978
	v_add_u32_e32 v6, s66, v6                                  // 0000000060E4: 680C0C42
	v_add_u32_e32 v7, s66, v7                                  // 0000000060E8: 680E0E42
	v_add_u32_e32 v8, s66, v8                                  // 0000000060EC: 68101042
	v_add_u32_e32 v9, s66, v9                                  // 0000000060F0: 68121242
	v_mfma_f32_16x16x16_bf16 v[96:99], v[122:123], a[94:95], v[96:99]// 0000000060F4: D3E10060 1582BD7A
	s_waitcnt lgkmcnt(0)                                       // 0000000060FC: BF8CC07F
	s_barrier                                                  // 000000006100: BF8A0000
	v_mfma_f32_16x16x16_bf16 v[180:183], v[124:125], v[164:165], v[180:183]// 000000006104: D3E100B4 06D3497C
	v_subrev_f32_dpp v76, v176, v76 quad_perm:[0,0,0,0] row_mask:0xf bank_mask:0xf// 00000000610C: 069898FA FF0000B0
	v_subrev_f32_dpp v77, v176, v77 quad_perm:[1,1,1,1] row_mask:0xf bank_mask:0xf// 000000006114: 069A9AFA FF0055B0
	v_subrev_f32_dpp v78, v176, v78 quad_perm:[2,2,2,2] row_mask:0xf bank_mask:0xf// 00000000611C: 069C9CFA FF00AAB0
	v_subrev_f32_dpp v79, v176, v79 quad_perm:[3,3,3,3] row_mask:0xf bank_mask:0xf// 000000006124: 069E9EFA FF00FFB0
	v_subrev_f32_dpp v80, v176, v80 quad_perm:[0,0,0,0] row_mask:0xf bank_mask:0xf// 00000000612C: 06A0A0FA FF0000B0
	v_subrev_f32_dpp v81, v176, v81 quad_perm:[1,1,1,1] row_mask:0xf bank_mask:0xf// 000000006134: 06A2A2FA FF0055B0
	v_mfma_f32_16x16x16_bf16 v[184:187], v[126:127], v[164:165], v[184:187]// 00000000613C: D3E100B8 06E3497E
	v_subrev_f32_dpp v82, v176, v82 quad_perm:[2,2,2,2] row_mask:0xf bank_mask:0xf// 000000006144: 06A4A4FA FF00AAB0
	v_subrev_f32_dpp v83, v176, v83 quad_perm:[3,3,3,3] row_mask:0xf bank_mask:0xf// 00000000614C: 06A6A6FA FF00FFB0
	v_subrev_f32_dpp v84, v176, v84 quad_perm:[0,0,0,0] row_mask:0xf bank_mask:0xf// 000000006154: 06A8A8FA FF0000B0
	v_subrev_f32_dpp v85, v176, v85 quad_perm:[1,1,1,1] row_mask:0xf bank_mask:0xf// 00000000615C: 06AAAAFA FF0055B0
	v_subrev_f32_dpp v86, v176, v86 quad_perm:[2,2,2,2] row_mask:0xf bank_mask:0xf// 000000006164: 06ACACFA FF00AAB0
	v_subrev_f32_dpp v87, v176, v87 quad_perm:[3,3,3,3] row_mask:0xf bank_mask:0xf// 00000000616C: 06AEAEFA FF00FFB0
	v_mfma_f32_16x16x16_bf16 v[188:191], v[128:129], v[164:165], v[188:191]// 000000006174: D3E100BC 06F34980
	v_mul_f32_e32 v76, v52, v76                                // 00000000617C: 0A989934
	v_mul_f32_e32 v77, v53, v77                                // 000000006180: 0A9A9B35
	v_mul_f32_e32 v78, v54, v78                                // 000000006184: 0A9C9D36
	v_mul_f32_e32 v79, v55, v79                                // 000000006188: 0A9E9F37
	v_mul_f32_e32 v80, v56, v80                                // 00000000618C: 0AA0A138
	v_mul_f32_e32 v81, v57, v81                                // 000000006190: 0AA2A339
	v_mfma_f32_16x16x16_bf16 v[192:195], v[130:131], v[164:165], v[192:195]// 000000006194: D3E100C0 07034982
	v_mul_f32_e32 v82, v58, v82                                // 00000000619C: 0AA4A53A
	v_mul_f32_e32 v83, v59, v83                                // 0000000061A0: 0AA6A73B
	v_mul_f32_e32 v84, v60, v84                                // 0000000061A4: 0AA8A93C
	v_mul_f32_e32 v85, v61, v85                                // 0000000061A8: 0AAAAB3D
	v_mul_f32_e32 v86, v62, v86                                // 0000000061AC: 0AACAD3E
	v_mul_f32_e32 v87, v63, v87                                // 0000000061B0: 0AAEAF3F
	v_mfma_f32_16x16x16_bf16 v[196:199], v[124:125], v[166:167], v[196:199]// 0000000061B4: D3E100C4 07134D7C
	v_perm_b32 v76, v77, v76, s64                              // 0000000061BC: D1ED004C 0102994D
	v_perm_b32 v77, v79, v78, s64                              // 0000000061C4: D1ED004D 01029D4F
	v_perm_b32 v78, v81, v80, s64                              // 0000000061CC: D1ED004E 0102A151
	v_perm_b32 v79, v83, v82, s64                              // 0000000061D4: D1ED004F 0102A553
	v_perm_b32 v80, v85, v84, s64                              // 0000000061DC: D1ED0050 0102A955
	v_perm_b32 v81, v87, v86, s64                              // 0000000061E4: D1ED0051 0102AD57
	v_mfma_f32_16x16x16_bf16 v[200:203], v[126:127], v[166:167], v[200:203]// 0000000061EC: D3E100C8 07234D7E
	v_mov_b32_dpp v18, v76 quad_perm:[1,0,3,2] row_mask:0xf bank_mask:0xf// 0000000061F4: 7E2402FA FF00B14C
	v_perm_b32 v52, v18, v76, v17                              // 0000000061FC: D1ED0034 04469912
	v_mov_b32_dpp v18, v77 quad_perm:[1,0,3,2] row_mask:0xf bank_mask:0xf// 000000006204: 7E2402FA FF00B14D
	v_perm_b32 v53, v18, v77, v17                              // 00000000620C: D1ED0035 04469B12
	v_mov_b32_dpp v18, v78 quad_perm:[1,0,3,2] row_mask:0xf bank_mask:0xf// 000000006214: 7E2402FA FF00B14E
	v_perm_b32 v54, v18, v78, v17                              // 00000000621C: D1ED0036 04469D12
	v_mfma_f32_16x16x16_bf16 v[204:207], v[128:129], v[166:167], v[204:207]// 000000006224: D3E100CC 07334D80
	v_mov_b32_dpp v18, v79 quad_perm:[1,0,3,2] row_mask:0xf bank_mask:0xf// 00000000622C: 7E2402FA FF00B14F
	v_perm_b32 v55, v18, v79, v17                              // 000000006234: D1ED0037 04469F12
	v_mov_b32_dpp v18, v80 quad_perm:[1,0,3,2] row_mask:0xf bank_mask:0xf// 00000000623C: 7E2402FA FF00B150
	v_perm_b32 v56, v18, v80, v17                              // 000000006244: D1ED0038 0446A112
	v_mov_b32_dpp v18, v81 quad_perm:[1,0,3,2] row_mask:0xf bank_mask:0xf// 00000000624C: 7E2402FA FF00B151
	v_perm_b32 v57, v18, v81, v17                              // 000000006254: D1ED0039 0446A312
	v_mfma_f32_16x16x16_bf16 v[208:211], v[130:131], v[166:167], v[208:211]// 00000000625C: D3E100D0 07434D82
	ds_write_b32 v20, v52 offset:17408                         // 000000006264: D81A4400 00003414
	ds_write_b32 v20, v53 offset:17952                         // 00000000626C: D81A4620 00003514
	v_mfma_f32_16x16x16_bf16 v[212:215], v[124:125], v[168:169], v[212:215]// 000000006274: D3E100D4 0753517C
	v_subrev_f32_dpp v88, v177, v88 quad_perm:[0,0,0,0] row_mask:0xf bank_mask:0xf// 00000000627C: 06B0B0FA FF0000B1
	v_subrev_f32_dpp v89, v177, v89 quad_perm:[1,1,1,1] row_mask:0xf bank_mask:0xf// 000000006284: 06B2B2FA FF0055B1
	v_subrev_f32_dpp v90, v177, v90 quad_perm:[2,2,2,2] row_mask:0xf bank_mask:0xf// 00000000628C: 06B4B4FA FF00AAB1
	v_subrev_f32_dpp v91, v177, v91 quad_perm:[3,3,3,3] row_mask:0xf bank_mask:0xf// 000000006294: 06B6B6FA FF00FFB1
	v_subrev_f32_dpp v92, v177, v92 quad_perm:[0,0,0,0] row_mask:0xf bank_mask:0xf// 00000000629C: 06B8B8FA FF0000B1
	v_subrev_f32_dpp v93, v177, v93 quad_perm:[1,1,1,1] row_mask:0xf bank_mask:0xf// 0000000062A4: 06BABAFA FF0055B1
	v_mfma_f32_16x16x16_bf16 v[216:219], v[126:127], v[168:169], v[216:219]// 0000000062AC: D3E100D8 0763517E
	ds_write_b32 v20, v54 offset:19712                         // 0000000062B4: D81A4D00 00003614
	ds_write_b32 v20, v55 offset:20256                         // 0000000062BC: D81A4F20 00003714
	v_mfma_f32_16x16x16_bf16 v[220:223], v[128:129], v[168:169], v[220:223]// 0000000062C4: D3E100DC 07735180
	v_subrev_f32_dpp v94, v177, v94 quad_perm:[2,2,2,2] row_mask:0xf bank_mask:0xf// 0000000062CC: 06BCBCFA FF00AAB1
	v_subrev_f32_dpp v95, v177, v95 quad_perm:[3,3,3,3] row_mask:0xf bank_mask:0xf// 0000000062D4: 06BEBEFA FF00FFB1
	v_subrev_f32_dpp v96, v177, v96 quad_perm:[0,0,0,0] row_mask:0xf bank_mask:0xf// 0000000062DC: 06C0C0FA FF0000B1
	v_subrev_f32_dpp v97, v177, v97 quad_perm:[1,1,1,1] row_mask:0xf bank_mask:0xf// 0000000062E4: 06C2C2FA FF0055B1
	v_subrev_f32_dpp v98, v177, v98 quad_perm:[2,2,2,2] row_mask:0xf bank_mask:0xf// 0000000062EC: 06C4C4FA FF00AAB1
	v_subrev_f32_dpp v99, v177, v99 quad_perm:[3,3,3,3] row_mask:0xf bank_mask:0xf// 0000000062F4: 06C6C6FA FF00FFB1
	v_mfma_f32_16x16x16_bf16 v[224:227], v[130:131], v[168:169], v[224:227]// 0000000062FC: D3E100E0 07835182
	ds_write_b32 v20, v56 offset:22016                         // 000000006304: D81A5600 00003814
	ds_write_b32 v20, v57 offset:22560                         // 00000000630C: D81A5820 00003914
	v_mfma_f32_16x16x16_bf16 v[180:183], v[132:133], v[170:171], v[180:183]// 000000006314: D3E100B4 06D35584
	v_mul_f32_e32 v88, v64, v88                                // 00000000631C: 0AB0B140
	v_mul_f32_e32 v89, v65, v89                                // 000000006320: 0AB2B341
	v_mul_f32_e32 v90, v66, v90                                // 000000006324: 0AB4B542
	v_mul_f32_e32 v91, v67, v91                                // 000000006328: 0AB6B743
	v_mul_f32_e32 v92, v68, v92                                // 00000000632C: 0AB8B944
	v_mul_f32_e32 v93, v69, v93                                // 000000006330: 0ABABB45
	v_mfma_f32_16x16x16_bf16 v[184:187], v[134:135], v[170:171], v[184:187]// 000000006334: D3E100B8 06E35586
	v_mul_f32_e32 v94, v70, v94                                // 00000000633C: 0ABCBD46
	v_mul_f32_e32 v95, v71, v95                                // 000000006340: 0ABEBF47
	v_mul_f32_e32 v96, v72, v96                                // 000000006344: 0AC0C148
	v_mul_f32_e32 v97, v73, v97                                // 000000006348: 0AC2C349
	v_mul_f32_e32 v98, v74, v98                                // 00000000634C: 0AC4C54A
	v_mul_f32_e32 v99, v75, v99                                // 000000006350: 0AC6C74B
	v_mfma_f32_16x16x16_bf16 v[188:191], v[136:137], v[170:171], v[188:191]// 000000006354: D3E100BC 06F35588
	v_perm_b32 v82, v89, v88, s64                              // 00000000635C: D1ED0052 0102B159
	v_perm_b32 v83, v91, v90, s64                              // 000000006364: D1ED0053 0102B55B
	v_perm_b32 v84, v93, v92, s64                              // 00000000636C: D1ED0054 0102B95D
	v_perm_b32 v85, v95, v94, s64                              // 000000006374: D1ED0055 0102BD5F
	v_perm_b32 v86, v97, v96, s64                              // 00000000637C: D1ED0056 0102C161
	v_perm_b32 v87, v99, v98, s64                              // 000000006384: D1ED0057 0102C563
	v_mfma_f32_16x16x16_bf16 v[192:195], v[138:139], v[170:171], v[192:195]// 00000000638C: D3E100C0 0703558A
	v_mov_b32_dpp v18, v82 quad_perm:[1,0,3,2] row_mask:0xf bank_mask:0xf// 000000006394: 7E2402FA FF00B152
	v_perm_b32 v58, v18, v82, v17                              // 00000000639C: D1ED003A 0446A512
	v_mov_b32_dpp v18, v83 quad_perm:[1,0,3,2] row_mask:0xf bank_mask:0xf// 0000000063A4: 7E2402FA FF00B153
	v_perm_b32 v59, v18, v83, v17                              // 0000000063AC: D1ED003B 0446A712
	v_mov_b32_dpp v18, v84 quad_perm:[1,0,3,2] row_mask:0xf bank_mask:0xf// 0000000063B4: 7E2402FA FF00B154
	v_perm_b32 v60, v18, v84, v17                              // 0000000063BC: D1ED003C 0446A912
	v_mfma_f32_16x16x16_bf16 v[196:199], v[132:133], v[172:173], v[196:199]// 0000000063C4: D3E100C4 07135984
	v_mov_b32_dpp v18, v85 quad_perm:[1,0,3,2] row_mask:0xf bank_mask:0xf// 0000000063CC: 7E2402FA FF00B155
	v_perm_b32 v61, v18, v85, v17                              // 0000000063D4: D1ED003D 0446AB12
	v_mov_b32_dpp v18, v86 quad_perm:[1,0,3,2] row_mask:0xf bank_mask:0xf// 0000000063DC: 7E2402FA FF00B156
	v_perm_b32 v62, v18, v86, v17                              // 0000000063E4: D1ED003E 0446AD12
	v_mov_b32_dpp v18, v87 quad_perm:[1,0,3,2] row_mask:0xf bank_mask:0xf// 0000000063EC: 7E2402FA FF00B157
	v_perm_b32 v63, v18, v87, v17                              // 0000000063F4: D1ED003F 0446AF12
	v_mfma_f32_16x16x16_bf16 v[200:203], v[134:135], v[172:173], v[200:203]// 0000000063FC: D3E100C8 07235986
	ds_write_b32 v20, v58 offset:24320                         // 000000006404: D81A5F00 00003A14
	ds_write_b32 v20, v59 offset:24864                         // 00000000640C: D81A6120 00003B14
	v_mfma_f32_16x16x16_bf16 v[204:207], v[136:137], v[172:173], v[204:207]// 000000006414: D3E100CC 07335988
	v_mfma_f32_16x16x16_bf16 v[208:211], v[138:139], v[172:173], v[208:211]// 00000000641C: D3E100D0 0743598A
	ds_write_b32 v20, v60 offset:26624                         // 000000006424: D81A6800 00003C14
	ds_write_b32 v20, v61 offset:27168                         // 00000000642C: D81A6A20 00003D14
	ds_write_b32 v20, v62 offset:28928                         // 000000006434: D81A7100 00003E14
	ds_write_b32 v20, v63 offset:29472                         // 00000000643C: D81A7320 00003F14
	v_mfma_f32_16x16x16_bf16 v[212:215], v[132:133], v[174:175], v[212:215]// 000000006444: D3E100D4 07535D84
	v_mfma_f32_16x16x16_bf16 v[216:219], v[134:135], v[174:175], v[216:219]// 00000000644C: D3E100D8 07635D86
	ds_write_b32 v15, v100 offset:4352                         // 000000006454: D81A1100 0000640F
	ds_write_b32 v15, v101 offset:5408                         // 00000000645C: D81A1520 0000650F
	v_mfma_f32_16x16x16_bf16 v[220:223], v[136:137], v[174:175], v[220:223]// 000000006464: D3E100DC 07735D88
	s_nop 0                                                    // 00000000646C: BF800000
	s_nop 0                                                    // 000000006470: BF800000
	s_nop 0                                                    // 000000006474: BF800000
	v_mfma_f32_16x16x16_bf16 v[224:227], v[138:139], v[174:175], v[224:227]// 000000006478: D3E100E0 07835D8A
	ds_write_b32 v15, v102 offset:6528                         // 000000006480: D81A1980 0000660F
	ds_write_b32 v15, v103 offset:7584                         // 000000006488: D81A1DA0 0000670F
	s_barrier                                                  // 000000006490: BF8A0000
	v_mfma_f32_16x16x16_bf16 a[112:115], a[96:97], v[76:77], a[112:115]// 000000006494: D3E18070 0DC29960
	buffer_atomic_add_f32 v156, v6, s[32:35], 0 idxen          // 00000000649C: E1342000 80089C06
	v_mfma_f32_16x16x16_bf16 a[116:119], a[98:99], v[76:77], a[116:119]// 0000000064A4: D3E18074 0DD29962
	ds_read_b32 v140, v23 offset:39936                         // 0000000064AC: D86C9C00 8C000017
	ds_read_b32 v144, v23 offset:40000                         // 0000000064B4: D86C9C40 90000017
	ds_read_b32 v176, v23 offset:40192                         // 0000000064BC: D86C9D00 B0000017
	ds_read_b32 v177, v23 offset:40256                         // 0000000064C4: D86C9D40 B1000017
	v_mfma_f32_16x16x16_bf16 a[120:123], a[100:101], v[76:77], a[120:123]// 0000000064CC: D3E18078 0DE29964
	s_waitcnt lgkmcnt(8)                                       // 0000000064D4: BF8CC87F
	s_barrier                                                  // 0000000064D8: BF8A0000
	v_mfma_f32_16x16x16_bf16 a[124:127], a[102:103], v[76:77], a[124:127]// 0000000064DC: D3E1807C 0DF29966
	ds_read_b128 v[52:55], v19 offset:17408                    // 0000000064E4: D9FE4400 34000013
	v_mfma_f32_16x16x16_bf16 a[128:131], a[96:97], v[78:79], a[128:131]// 0000000064EC: D3E18080 0E029D60
	v_mfma_f32_16x16x16_bf16 a[132:135], a[98:99], v[78:79], a[132:135]// 0000000064F4: D3E18084 0E129D62
	ds_read_b128 v[56:59], v19 offset:18560                    // 0000000064FC: D9FE4880 38000013
	v_mfma_f32_16x16x16_bf16 a[136:139], a[100:101], v[78:79], a[136:139]// 000000006504: D3E18088 0E229D64
	buffer_atomic_add_f32 v157, v7, s[32:35], 0 idxen          // 00000000650C: E1342000 80089D07
	v_mfma_f32_16x16x16_bf16 a[140:143], a[102:103], v[78:79], a[140:143]// 000000006514: D3E1808C 0E329D66
	ds_read_b128 v[60:63], v19 offset:19712                    // 00000000651C: D9FE4D00 3C000013
	v_mfma_f32_16x16x16_bf16 a[144:147], a[96:97], v[80:81], a[144:147]// 000000006524: D3E18090 0E42A160
	v_mfma_f32_16x16x16_bf16 a[148:151], a[98:99], v[80:81], a[148:151]// 00000000652C: D3E18094 0E52A162
	ds_read_b128 v[64:67], v19 offset:20864                    // 000000006534: D9FE5180 40000013
	v_mfma_f32_16x16x16_bf16 a[152:155], a[100:101], v[80:81], a[152:155]// 00000000653C: D3E18098 0E62A164
	v_mfma_f32_16x16x16_bf16 a[156:159], a[102:103], v[80:81], a[156:159]// 000000006544: D3E1809C 0E72A166
	ds_read_b128 v[68:71], v19 offset:22016                    // 00000000654C: D9FE5600 44000013
	v_mfma_f32_16x16x16_bf16 a[112:115], a[104:105], v[82:83], a[112:115]// 000000006554: D3E18070 0DC2A568
	buffer_atomic_add_f32 v158, v6, s[32:35], 0 idxen offset:128// 00000000655C: E1342080 80089E06
	v_mfma_f32_16x16x16_bf16 a[116:119], a[106:107], v[82:83], a[116:119]// 000000006564: D3E18074 0DD2A56A
	ds_read_b128 v[72:75], v19 offset:23168                    // 00000000656C: D9FE5A80 48000013
	v_mfma_f32_16x16x16_bf16 a[120:123], a[108:109], v[82:83], a[120:123]// 000000006574: D3E18078 0DE2A56C
	v_mfma_f32_16x16x16_bf16 a[124:127], a[110:111], v[82:83], a[124:127]// 00000000657C: D3E1807C 0DF2A56E
	ds_write_b32 v15, v104 offset:13056                        // 000000006584: D81A3300 0000680F
	v_mfma_f32_16x16x16_bf16 a[128:131], a[104:105], v[84:85], a[128:131]// 00000000658C: D3E18080 0E02A968
	v_mfma_f32_16x16x16_bf16 a[132:135], a[106:107], v[84:85], a[132:135]// 000000006594: D3E18084 0E12A96A
	ds_write_b32 v15, v105 offset:14112                        // 00000000659C: D81A3720 0000690F
	v_mfma_f32_16x16x16_bf16 a[136:139], a[108:109], v[84:85], a[136:139]// 0000000065A4: D3E18088 0E22A96C
	buffer_atomic_add_f32 v159, v7, s[32:35], 0 idxen offset:128// 0000000065AC: E1342080 80089F07
	v_mfma_f32_16x16x16_bf16 a[140:143], a[110:111], v[84:85], a[140:143]// 0000000065B4: D3E1808C 0E32A96E
	ds_write_b32 v15, v106 offset:15232                        // 0000000065BC: D81A3B80 00006A0F
	v_mfma_f32_16x16x16_bf16 a[144:147], a[104:105], v[86:87], a[144:147]// 0000000065C4: D3E18090 0E42AD68
	v_mfma_f32_16x16x16_bf16 a[148:151], a[106:107], v[86:87], a[148:151]// 0000000065CC: D3E18094 0E52AD6A
	ds_write_b32 v15, v107 offset:16288                        // 0000000065D4: D81A3FA0 00006B0F
	v_mfma_f32_16x16x16_bf16 a[152:155], a[108:109], v[86:87], a[152:155]// 0000000065DC: D3E18098 0E62AD6C
	v_mfma_f32_16x16x16_bf16 a[156:159], a[110:111], v[86:87], a[156:159]// 0000000065E4: D3E1809C 0E72AD6E
	s_waitcnt vmcnt(8) lgkmcnt(4)                              // 0000000065EC: BF8C0478
	s_barrier                                                  // 0000000065F0: BF8A0000
	v_mfma_f32_16x16x16_bf16 v[148:151], v[52:53], a[24:25], 0 // 0000000065F4: D3E10094 12023134
	v_mul_f32_e32 v140, s48, v140                              // 0000000065FC: 0B191830
	v_mul_f32_e32 v144, s48, v144                              // 000000006600: 0B212030
	s_nop 0                                                    // 000000006604: BF800000
	v_mfma_f32_16x16x16_bf16 v[148:151], v[54:55], a[28:29], v[148:151]// 000000006608: D3E10094 16523936
	ds_read_b128 a[96:99], v12                                 // 000000006610: DBFE0000 6000000C
	buffer_load_dword v40, v1, s[8:11], 0 idxen                // 000000006618: E0502000 80022801
	v_mfma_f32_16x16x16_bf16 v[148:151], v[56:57], a[32:33], v[148:151]// 000000006620: D3E10094 16524138
	v_mfma_f32_16x16x16_bf16 v[148:151], v[58:59], a[36:37], v[148:151]// 000000006628: D3E10094 1652493A
	ds_read_b128 a[100:103], v12 offset:512                    // 000000006630: DBFE0200 6400000C
	buffer_load_dword v41, v2, s[8:11], 0 idxen                // 000000006638: E0502000 80022902
	v_mfma_f32_16x16x16_bf16 v[148:151], v[60:61], a[40:41], v[148:151]// 000000006640: D3E10094 1652513C
	v_perm_b32 v100, v37, v36, s63                             // 000000006648: D1ED0064 00FE4925
	v_perm_b32 v101, v37, v36, s64                             // 000000006650: D1ED0065 01024925
	v_mfma_f32_16x16x16_bf16 v[148:151], v[62:63], a[44:45], v[148:151]// 000000006658: D3E10094 1652593E
	ds_read_b128 a[104:107], v12 offset:2176                   // 000000006660: DBFE0880 6800000C
	buffer_load_dword v42, v3, s[8:11], 0 idxen                // 000000006668: E0502000 80022A03
	v_mfma_f32_16x16x16_bf16 v[148:151], v[64:65], a[48:49], v[148:151]// 000000006670: D3E10094 16526140
	v_perm_b32 v102, v39, v38, s63                             // 000000006678: D1ED0066 00FE4D27
	v_perm_b32 v103, v39, v38, s64                             // 000000006680: D1ED0067 01024D27
	v_mfma_f32_16x16x16_bf16 v[148:151], v[66:67], a[52:53], v[148:151]// 000000006688: D3E10094 16526942
	ds_read_b128 a[108:111], v12 offset:2688                   // 000000006690: DBFE0A80 6C00000C
	buffer_load_dword v43, v4, s[8:11], 0 idxen                // 000000006698: E0502000 80022B04
	v_mfma_f32_16x16x16_bf16 v[148:151], v[68:69], a[56:57], v[148:151]// 0000000066A0: D3E10094 16527144
	v_perm_b32 v104, v45, v44, s63                             // 0000000066A8: D1ED0068 00FE592D
	v_perm_b32 v105, v45, v44, s64                             // 0000000066B0: D1ED0069 0102592D
	v_mfma_f32_16x16x16_bf16 v[148:151], v[70:71], a[60:61], v[148:151]// 0000000066B8: D3E10094 16527946
	ds_read_b128 v[108:111], v12 offset:8704                   // 0000000066C0: D9FE2200 6C00000C
	buffer_load_dword v48, v232, s[20:23], 0 idxen             // 0000000066C8: E0502000 800530E8
	v_mfma_f32_16x16x16_bf16 v[148:151], v[72:73], a[64:65], v[148:151]// 0000000066D0: D3E10094 16528148
	v_perm_b32 v106, v47, v46, s63                             // 0000000066D8: D1ED006A 00FE5D2F
	v_perm_b32 v107, v47, v46, s64                             // 0000000066E0: D1ED006B 01025D2F
	v_mfma_f32_16x16x16_bf16 v[148:151], v[74:75], a[68:69], v[148:151]// 0000000066E8: D3E10094 1652894A
	ds_read_b128 v[112:115], v12 offset:9216                   // 0000000066F0: D9FE2400 7000000C
	buffer_load_dword v49, v233, s[20:23], 0 idxen             // 0000000066F8: E0502000 800531E9
	v_mfma_f32_16x16x16_bf16 v[152:155], v[52:53], a[26:27], 0 // 000000006700: D3E10098 12023534
	v_mov_b32_dpp v143, v140 quad_perm:[3,3,3,3] row_mask:0xf bank_mask:0xf// 000000006708: 7F1E02FA FF00FF8C
	v_mov_b32_dpp v142, v140 quad_perm:[2,2,2,2] row_mask:0xf bank_mask:0xf// 000000006710: 7F1C02FA FF00AA8C
	v_mov_b32_dpp v141, v140 quad_perm:[1,1,1,1] row_mask:0xf bank_mask:0xf// 000000006718: 7F1A02FA FF00558C
	v_mov_b32_dpp v140, v140 quad_perm:[0,0,0,0] row_mask:0xf bank_mask:0xf// 000000006720: 7F1802FA FF00008C
	v_mfma_f32_16x16x16_bf16 v[152:155], v[54:55], a[30:31], v[152:155]// 000000006728: D3E10098 16623D36
	ds_read_b128 v[116:119], v12 offset:10880                  // 000000006730: D9FE2A80 7400000C
	buffer_load_dword v50, v234, s[20:23], 0 idxen             // 000000006738: E0502000 800532EA
	v_mfma_f32_16x16x16_bf16 v[152:155], v[56:57], a[34:35], v[152:155]// 000000006740: D3E10098 16624538
	v_mov_b32_dpp v147, v144 quad_perm:[3,3,3,3] row_mask:0xf bank_mask:0xf// 000000006748: 7F2602FA FF00FF90
	v_mov_b32_dpp v146, v144 quad_perm:[2,2,2,2] row_mask:0xf bank_mask:0xf// 000000006750: 7F2402FA FF00AA90
	v_mov_b32_dpp v145, v144 quad_perm:[1,1,1,1] row_mask:0xf bank_mask:0xf// 000000006758: 7F2202FA FF005590
	v_mov_b32_dpp v144, v144 quad_perm:[0,0,0,0] row_mask:0xf bank_mask:0xf// 000000006760: 7F2002FA FF000090
	s_add_u32 s60, 0x80, s59                                   // 000000006768: 803C3BFF 00000080
	v_mfma_f32_16x16x16_bf16 v[152:155], v[58:59], a[38:39], v[152:155]// 000000006770: D3E10098 16624D3A
	ds_read_b128 v[120:123], v12 offset:11392                  // 000000006778: D9FE2C80 7800000C
	buffer_load_dword v51, v235, s[20:23], 0 idxen             // 000000006780: E0502000 800533EB
	v_mfma_f32_16x16x16_bf16 v[152:155], v[60:61], a[42:43], v[152:155]// 000000006788: D3E10098 1662553C
	s_cmp_lt_u32 s60, s58                                      // 000000006790: BF0A3A3C
	s_cselect_b32 s68, s68, 0                                  // 000000006794: 85448044
	s_cselect_b32 s100, s100, 0                                // 000000006798: 85648064
	s_cselect_b32 s69, s69, 0                                  // 00000000679C: 85458045
	v_mfma_f32_16x16x16_bf16 v[152:155], v[62:63], a[46:47], v[152:155]// 0000000067A0: D3E10098 16625D3E
	buffer_load_dword v11, s[24:27], 0 idxen lds               // 0000000067A8: E0512000 8006000B
	v_mfma_f32_16x16x16_bf16 v[152:155], v[64:65], a[50:51], v[152:155]// 0000000067B0: D3E10098 16626540
	v_add_u32_e32 v1, s68, v1                                  // 0000000067B8: 68020244
	v_add_u32_e32 v2, s68, v2                                  // 0000000067BC: 68040444
	v_add_u32_e32 v3, s68, v3                                  // 0000000067C0: 68060644
	v_add_u32_e32 v4, s68, v4                                  // 0000000067C4: 68080844
	v_mfma_f32_16x16x16_bf16 v[152:155], v[66:67], a[54:55], v[152:155]// 0000000067C8: D3E10098 16626D42
	v_add_u32_e32 v232, s100, v232                             // 0000000067D0: 69D1D064
	v_add_u32_e32 v233, s100, v233                             // 0000000067D4: 69D3D264
	v_add_u32_e32 v234, s100, v234                             // 0000000067D8: 69D5D464
	v_add_u32_e32 v235, s100, v235                             // 0000000067DC: 69D7D664
	v_mfma_f32_16x16x16_bf16 v[152:155], v[68:69], a[58:59], v[152:155]// 0000000067E0: D3E10098 16627544
	s_mov_b32 m0, s80                                          // 0000000067E8: BEFC0050
	v_add_u32_e32 v11, s69, v11                                // 0000000067EC: 68161645
	v_mfma_f32_16x16x16_bf16 v[152:155], v[70:71], a[62:63], v[152:155]// 0000000067F0: D3E10098 16627D46
	s_cmp_ge_u32 s59, s73                                      // 0000000067F8: BF09493B
	s_cselect_b32 s66, s67, s66                                // 0000000067FC: 85424243
	v_mfma_f32_16x16x16_bf16 v[152:155], v[72:73], a[66:67], v[152:155]// 000000006800: D3E10098 16628548
	s_addk_i32 s59, 0x20                                       // 000000006808: B73B0020
	s_nop 0                                                    // 00000000680C: BF800000
	s_cmp_lt_i32 s59, s58                                      // 000000006810: BF043A3B
	v_mfma_f32_16x16x16_bf16 v[152:155], v[74:75], a[70:71], v[152:155]// 000000006814: D3E10098 16628D4A
	s_cbranch_scc0 label_0EC5                                  // 00000000681C: BF84042B
	s_waitcnt lgkmcnt(4)                                       // 000000006820: BF8CC47F
	s_barrier                                                  // 000000006824: BF8A0000
	v_mfma_f32_16x16x16_bf16 v[52:55], a[96:97], a[0:1], 0     // 000000006828: D3E10034 1A020160
	ds_write_b32 v13, v44 offset:8704                          // 000000006830: D81A2200 00002C0D
	ds_write_b32 v13, v45 offset:9760                          // 000000006838: D81A2620 00002D0D
	v_mfma_f32_16x16x16_bf16 v[52:55], a[98:99], a[2:3], v[52:55]// 000000006840: D3E10034 1CD20562
	v_mul_f32_e32 v148, s47, v148                              // 000000006848: 0B29282F
	v_mul_f32_e32 v149, s47, v149                              // 00000000684C: 0B2B2A2F
	v_mfma_f32_16x16x16_bf16 v[52:55], a[100:101], a[4:5], v[52:55]// 000000006850: D3E10034 1CD20964
	ds_write_b32 v13, v46 offset:10880                         // 000000006858: D81A2A80 00002E0D
	ds_write_b32 v13, v47 offset:11936                         // 000000006860: D81A2EA0 00002F0D
	v_mfma_f32_16x16x16_bf16 v[52:55], a[102:103], a[6:7], v[52:55]// 000000006868: D3E10034 1CD20D66
	v_mul_f32_e32 v150, s47, v150                              // 000000006870: 0B2D2C2F
	v_mul_f32_e32 v151, s47, v151                              // 000000006874: 0B2F2E2F
	v_mfma_f32_16x16x16_bf16 v[56:59], a[96:97], a[8:9], 0     // 000000006878: D3E10038 1A021160
	ds_write_b64 v22, v[148:149] offset:31232                  // 000000006880: D89A7A00 00009416
	v_mfma_f32_16x16x16_bf16 v[56:59], a[98:99], a[10:11], v[56:59]// 000000006888: D3E10038 1CE21562
	v_mul_f32_e32 v152, s47, v152                              // 000000006890: 0B31302F
	v_mul_f32_e32 v153, s47, v153                              // 000000006894: 0B33322F
	v_mfma_f32_16x16x16_bf16 v[56:59], a[100:101], a[12:13], v[56:59]// 000000006898: D3E10038 1CE21964
	ds_write_b64 v22, v[150:151] offset:31744                  // 0000000068A0: D89A7C00 00009616
	v_mfma_f32_16x16x16_bf16 v[56:59], a[102:103], a[14:15], v[56:59]// 0000000068A8: D3E10038 1CE21D66
	v_mul_f32_e32 v154, s47, v154                              // 0000000068B0: 0B35342F
	v_mul_f32_e32 v155, s47, v155                              // 0000000068B4: 0B37362F
	v_mfma_f32_16x16x16_bf16 v[60:63], a[96:97], a[16:17], 0   // 0000000068B8: D3E1003C 1A022160
	ds_write_b64 v22, v[152:153] offset:32256                  // 0000000068C0: D89A7E00 00009816
	v_mfma_f32_16x16x16_bf16 v[60:63], a[98:99], a[18:19], v[60:63]// 0000000068C8: D3E1003C 1CF22562
	buffer_atomic_add_f32 v160, v8, s[32:35], 0 idxen          // 0000000068D0: E1342000 8008A008
	v_mfma_f32_16x16x16_bf16 v[60:63], a[100:101], a[20:21], v[60:63]// 0000000068D8: D3E1003C 1CF22964
	ds_write_b64 v22, v[154:155] offset:32768                  // 0000000068E0: D89A8000 00009A16
	v_mfma_f32_16x16x16_bf16 v[60:63], a[102:103], a[22:23], v[60:63]// 0000000068E8: D3E1003C 1CF22D66
	v_mfma_f32_16x16x16_bf16 v[64:67], a[104:105], a[0:1], 0   // 0000000068F0: D3E10040 1A020168
	ds_read_b128 v[124:127], v14 offset:13056                  // 0000000068F8: D9FE3300 7C00000E
	ds_write_b32 v13, v36                                      // 000000006900: D81A0000 0000240D
	v_mfma_f32_16x16x16_bf16 v[64:67], a[106:107], a[2:3], v[64:67]// 000000006908: D3E10040 1D02056A
	buffer_atomic_add_f32 v161, v9, s[32:35], 0 idxen          // 000000006910: E1342000 8008A109
	v_mfma_f32_16x16x16_bf16 v[64:67], a[108:109], a[4:5], v[64:67]// 000000006918: D3E10040 1D02096C
	v_mfma_f32_16x16x16_bf16 v[64:67], a[110:111], a[6:7], v[64:67]// 000000006920: D3E10040 1D020D6E
	ds_read_b128 v[128:131], v14 offset:13568                  // 000000006928: D9FE3500 8000000E
	ds_write_b32 v13, v37 offset:1056                          // 000000006930: D81A0420 0000250D
	v_mfma_f32_16x16x16_bf16 v[68:71], a[104:105], a[8:9], 0   // 000000006938: D3E10044 1A021168
	buffer_atomic_add_f32 v162, v8, s[32:35], 0 idxen offset:128// 000000006940: E1342080 8008A208
	v_mfma_f32_16x16x16_bf16 v[68:71], a[106:107], a[10:11], v[68:71]// 000000006948: D3E10044 1D12156A
	v_mfma_f32_16x16x16_bf16 v[68:71], a[108:109], a[12:13], v[68:71]// 000000006950: D3E10044 1D12196C
	ds_read_b128 v[132:135], v14 offset:15232                  // 000000006958: D9FE3B80 8400000E
	ds_write_b32 v13, v38 offset:2176                          // 000000006960: D81A0880 0000260D
	v_mfma_f32_16x16x16_bf16 v[68:71], a[110:111], a[14:15], v[68:71]// 000000006968: D3E10044 1D121D6E
	v_mfma_f32_16x16x16_bf16 v[72:75], a[104:105], a[16:17], 0 // 000000006970: D3E10048 1A022168
	buffer_atomic_add_f32 v163, v9, s[32:35], 0 idxen offset:128// 000000006978: E1342080 8008A309
	v_mfma_f32_16x16x16_bf16 v[72:75], a[106:107], a[18:19], v[72:75]// 000000006980: D3E10048 1D22256A
	ds_read_b128 v[136:139], v14 offset:15744                  // 000000006988: D9FE3D80 8800000E
	ds_write_b32 v13, v39 offset:3232                          // 000000006990: D81A0CA0 0000270D
	v_mfma_f32_16x16x16_bf16 v[72:75], a[108:109], a[20:21], v[72:75]// 000000006998: D3E10048 1D22296C
	v_mfma_f32_16x16x16_bf16 v[72:75], a[110:111], a[22:23], v[72:75]// 0000000069A0: D3E10048 1D222D6E
	s_cmp_lt_i32 s74, 12                                       // 0000000069A8: BF048C4A
	s_cbranch_scc0 label_0BDB                                  // 0000000069AC: BF8400E6
	s_mov_b32 s60, 0xffe0fffe                                  // 0000000069B0: BEBC00FF FFE0FFFE
	s_mov_b32 s61, 0xe000fe00                                  // 0000000069B8: BEBD00FF E000FE00
	s_nop 0                                                    // 0000000069C0: BF800000
	s_add_u32 s62, 0, s46                                      // 0000000069C4: 803E2E80
	s_cmp_lt_i32 s74, s62                                      // 0000000069C8: BF043E4A
	s_cbranch_scc1 label_0B25                                  // 0000000069CC: BF850028
	s_cmp_eq_i32 s74, s62                                      // 0000000069D0: BF003E4A
	s_cbranch_scc1 label_0B0A                                  // 0000000069D4: BF85000B
	s_add_u32 s62, 4, s46                                      // 0000000069D8: 803E2E84
	s_cmp_lt_i32 s74, s62                                      // 0000000069DC: BF043E4A
	s_cbranch_scc1 label_0B45                                  // 0000000069E0: BF850043
	s_cmp_eq_i32 s74, s62                                      // 0000000069E4: BF003E4A
	s_cbranch_scc1 label_0B2A                                  // 0000000069E8: BF850026
	s_add_u32 s62, 8, s46                                      // 0000000069EC: 803E2E88
	s_cmp_lt_i32 s74, s62                                      // 0000000069F0: BF043E4A
	s_cbranch_scc1 label_0B65                                  // 0000000069F4: BF85005E
	s_cmp_eq_i32 s74, s62                                      // 0000000069F8: BF003E4A
	s_cbranch_scc1 label_0B4A                                  // 0000000069FC: BF850041
	s_branch label_0B6A                                        // 000000006A00: BF820060

0000000000006a04 <label_0B0A>:
	v_cndmask_b32_e64 v52, v52, v178, s[60:61]                 // 000000006A04: D1000034 00F36534
	s_lshl_b32 s60, s60, 1                                     // 000000006A0C: 8E3C813C
	s_lshl_b32 s61, s61, 1                                     // 000000006A10: 8E3D813D
	s_and_b32 s60, 0xfffeffff, s60                             // 000000006A14: 863C3CFF FFFEFFFF
	s_and_b32 s61, 0xfffeffff, s61                             // 000000006A1C: 863D3DFF FFFEFFFF
	v_cndmask_b32_e64 v53, v53, v178, s[60:61]                 // 000000006A24: D1000035 00F36535
	s_lshl_b32 s60, s60, 1                                     // 000000006A2C: 8E3C813C
	s_lshl_b32 s61, s61, 1                                     // 000000006A30: 8E3D813D
	s_and_b32 s60, 0xfffeffff, s60                             // 000000006A34: 863C3CFF FFFEFFFF
	s_and_b32 s61, 0xfffeffff, s61                             // 000000006A3C: 863D3DFF FFFEFFFF
	v_cndmask_b32_e64 v54, v54, v178, s[60:61]                 // 000000006A44: D1000036 00F36536
	s_lshl_b32 s60, s60, 1                                     // 000000006A4C: 8E3C813C
	s_lshl_b32 s61, s61, 1                                     // 000000006A50: 8E3D813D
	s_and_b32 s60, 0xfffeffff, s60                             // 000000006A54: 863C3CFF FFFEFFFF
	s_and_b32 s61, 0xfffeffff, s61                             // 000000006A5C: 863D3DFF FFFEFFFF
	v_cndmask_b32_e64 v55, v55, v178, s[60:61]                 // 000000006A64: D1000037 00F36537
	s_branch label_0B45                                        // 000000006A6C: BF820020

0000000000006a70 <label_0B25>:
	v_mov_b32_e32 v52, v178                                    // 000000006A70: 7E6803B2
	v_mov_b32_e32 v53, v178                                    // 000000006A74: 7E6A03B2
	v_mov_b32_e32 v54, v178                                    // 000000006A78: 7E6C03B2
	v_mov_b32_e32 v55, v178                                    // 000000006A7C: 7E6E03B2
	s_branch label_0B45                                        // 000000006A80: BF82001B

0000000000006a84 <label_0B2A>:
	v_cndmask_b32_e64 v56, v56, v178, s[60:61]                 // 000000006A84: D1000038 00F36538
	s_lshl_b32 s60, s60, 1                                     // 000000006A8C: 8E3C813C
	s_lshl_b32 s61, s61, 1                                     // 000000006A90: 8E3D813D
	s_and_b32 s60, 0xfffeffff, s60                             // 000000006A94: 863C3CFF FFFEFFFF
	s_and_b32 s61, 0xfffeffff, s61                             // 000000006A9C: 863D3DFF FFFEFFFF
	v_cndmask_b32_e64 v57, v57, v178, s[60:61]                 // 000000006AA4: D1000039 00F36539
	s_lshl_b32 s60, s60, 1                                     // 000000006AAC: 8E3C813C
	s_lshl_b32 s61, s61, 1                                     // 000000006AB0: 8E3D813D
	s_and_b32 s60, 0xfffeffff, s60                             // 000000006AB4: 863C3CFF FFFEFFFF
	s_and_b32 s61, 0xfffeffff, s61                             // 000000006ABC: 863D3DFF FFFEFFFF
	v_cndmask_b32_e64 v58, v58, v178, s[60:61]                 // 000000006AC4: D100003A 00F3653A
	s_lshl_b32 s60, s60, 1                                     // 000000006ACC: 8E3C813C
	s_lshl_b32 s61, s61, 1                                     // 000000006AD0: 8E3D813D
	s_and_b32 s60, 0xfffeffff, s60                             // 000000006AD4: 863C3CFF FFFEFFFF
	s_and_b32 s61, 0xfffeffff, s61                             // 000000006ADC: 863D3DFF FFFEFFFF
	v_cndmask_b32_e64 v59, v59, v178, s[60:61]                 // 000000006AE4: D100003B 00F3653B
	s_branch label_0B65                                        // 000000006AEC: BF820020

0000000000006af0 <label_0B45>:
	v_mov_b32_e32 v56, v178                                    // 000000006AF0: 7E7003B2
	v_mov_b32_e32 v57, v178                                    // 000000006AF4: 7E7203B2
	v_mov_b32_e32 v58, v178                                    // 000000006AF8: 7E7403B2
	v_mov_b32_e32 v59, v178                                    // 000000006AFC: 7E7603B2
	s_branch label_0B65                                        // 000000006B00: BF82001B

0000000000006b04 <label_0B4A>:
	v_cndmask_b32_e64 v60, v60, v178, s[60:61]                 // 000000006B04: D100003C 00F3653C
	s_lshl_b32 s60, s60, 1                                     // 000000006B0C: 8E3C813C
	s_lshl_b32 s61, s61, 1                                     // 000000006B10: 8E3D813D
	s_and_b32 s60, 0xfffeffff, s60                             // 000000006B14: 863C3CFF FFFEFFFF
	s_and_b32 s61, 0xfffeffff, s61                             // 000000006B1C: 863D3DFF FFFEFFFF
	v_cndmask_b32_e64 v61, v61, v178, s[60:61]                 // 000000006B24: D100003D 00F3653D
	s_lshl_b32 s60, s60, 1                                     // 000000006B2C: 8E3C813C
	s_lshl_b32 s61, s61, 1                                     // 000000006B30: 8E3D813D
	s_and_b32 s60, 0xfffeffff, s60                             // 000000006B34: 863C3CFF FFFEFFFF
	s_and_b32 s61, 0xfffeffff, s61                             // 000000006B3C: 863D3DFF FFFEFFFF
	v_cndmask_b32_e64 v62, v62, v178, s[60:61]                 // 000000006B44: D100003E 00F3653E
	s_lshl_b32 s60, s60, 1                                     // 000000006B4C: 8E3C813C
	s_lshl_b32 s61, s61, 1                                     // 000000006B50: 8E3D813D
	s_and_b32 s60, 0xfffeffff, s60                             // 000000006B54: 863C3CFF FFFEFFFF
	s_and_b32 s61, 0xfffeffff, s61                             // 000000006B5C: 863D3DFF FFFEFFFF
	v_cndmask_b32_e64 v63, v63, v178, s[60:61]                 // 000000006B64: D100003F 00F3653F
	s_branch label_0B6A                                        // 000000006B6C: BF820005

0000000000006b70 <label_0B65>:
	v_mov_b32_e32 v60, v178                                    // 000000006B70: 7E7803B2
	v_mov_b32_e32 v61, v178                                    // 000000006B74: 7E7A03B2
	v_mov_b32_e32 v62, v178                                    // 000000006B78: 7E7C03B2
	v_mov_b32_e32 v63, v178                                    // 000000006B7C: 7E7E03B2
	s_branch label_0B6A                                        // 000000006B80: BF820000

0000000000006b84 <label_0B6A>:
	s_addk_i32 s74, 0x1                                        // 000000006B84: B74A0001
	s_add_u32 s62, 0, s46                                      // 000000006B88: 803E2E80
	s_cmp_lt_i32 s74, s62                                      // 000000006B8C: BF043E4A
	s_cbranch_scc1 label_0B96                                  // 000000006B90: BF850028
	s_cmp_eq_i32 s74, s62                                      // 000000006B94: BF003E4A
	s_cbranch_scc1 label_0B7B                                  // 000000006B98: BF85000B
	s_add_u32 s62, 4, s46                                      // 000000006B9C: 803E2E84
	s_cmp_lt_i32 s74, s62                                      // 000000006BA0: BF043E4A
	s_cbranch_scc1 label_0BB6                                  // 000000006BA4: BF850043
	s_cmp_eq_i32 s74, s62                                      // 000000006BA8: BF003E4A
	s_cbranch_scc1 label_0B9B                                  // 000000006BAC: BF850026
	s_add_u32 s62, 8, s46                                      // 000000006BB0: 803E2E88
	s_cmp_lt_i32 s74, s62                                      // 000000006BB4: BF043E4A
	s_cbranch_scc1 label_0BD6                                  // 000000006BB8: BF85005E
	s_cmp_eq_i32 s74, s62                                      // 000000006BBC: BF003E4A
	s_cbranch_scc1 label_0BBB                                  // 000000006BC0: BF850041
	s_branch label_0BDB                                        // 000000006BC4: BF820060

0000000000006bc8 <label_0B7B>:
	v_cndmask_b32_e64 v64, v64, v178, s[60:61]                 // 000000006BC8: D1000040 00F36540
	s_lshl_b32 s60, s60, 1                                     // 000000006BD0: 8E3C813C
	s_lshl_b32 s61, s61, 1                                     // 000000006BD4: 8E3D813D
	s_and_b32 s60, 0xfffeffff, s60                             // 000000006BD8: 863C3CFF FFFEFFFF
	s_and_b32 s61, 0xfffeffff, s61                             // 000000006BE0: 863D3DFF FFFEFFFF
	v_cndmask_b32_e64 v65, v65, v178, s[60:61]                 // 000000006BE8: D1000041 00F36541
	s_lshl_b32 s60, s60, 1                                     // 000000006BF0: 8E3C813C
	s_lshl_b32 s61, s61, 1                                     // 000000006BF4: 8E3D813D
	s_and_b32 s60, 0xfffeffff, s60                             // 000000006BF8: 863C3CFF FFFEFFFF
	s_and_b32 s61, 0xfffeffff, s61                             // 000000006C00: 863D3DFF FFFEFFFF
	v_cndmask_b32_e64 v66, v66, v178, s[60:61]                 // 000000006C08: D1000042 00F36542
	s_lshl_b32 s60, s60, 1                                     // 000000006C10: 8E3C813C
	s_lshl_b32 s61, s61, 1                                     // 000000006C14: 8E3D813D
	s_and_b32 s60, 0xfffeffff, s60                             // 000000006C18: 863C3CFF FFFEFFFF
	s_and_b32 s61, 0xfffeffff, s61                             // 000000006C20: 863D3DFF FFFEFFFF
	v_cndmask_b32_e64 v67, v67, v178, s[60:61]                 // 000000006C28: D1000043 00F36543
	s_branch label_0BB6                                        // 000000006C30: BF820020

0000000000006c34 <label_0B96>:
	v_mov_b32_e32 v64, v178                                    // 000000006C34: 7E8003B2
	v_mov_b32_e32 v65, v178                                    // 000000006C38: 7E8203B2
	v_mov_b32_e32 v66, v178                                    // 000000006C3C: 7E8403B2
	v_mov_b32_e32 v67, v178                                    // 000000006C40: 7E8603B2
	s_branch label_0BB6                                        // 000000006C44: BF82001B

0000000000006c48 <label_0B9B>:
	v_cndmask_b32_e64 v68, v68, v178, s[60:61]                 // 000000006C48: D1000044 00F36544
	s_lshl_b32 s60, s60, 1                                     // 000000006C50: 8E3C813C
	s_lshl_b32 s61, s61, 1                                     // 000000006C54: 8E3D813D
	s_and_b32 s60, 0xfffeffff, s60                             // 000000006C58: 863C3CFF FFFEFFFF
	s_and_b32 s61, 0xfffeffff, s61                             // 000000006C60: 863D3DFF FFFEFFFF
	v_cndmask_b32_e64 v69, v69, v178, s[60:61]                 // 000000006C68: D1000045 00F36545
	s_lshl_b32 s60, s60, 1                                     // 000000006C70: 8E3C813C
	s_lshl_b32 s61, s61, 1                                     // 000000006C74: 8E3D813D
	s_and_b32 s60, 0xfffeffff, s60                             // 000000006C78: 863C3CFF FFFEFFFF
	s_and_b32 s61, 0xfffeffff, s61                             // 000000006C80: 863D3DFF FFFEFFFF
	v_cndmask_b32_e64 v70, v70, v178, s[60:61]                 // 000000006C88: D1000046 00F36546
	s_lshl_b32 s60, s60, 1                                     // 000000006C90: 8E3C813C
	s_lshl_b32 s61, s61, 1                                     // 000000006C94: 8E3D813D
	s_and_b32 s60, 0xfffeffff, s60                             // 000000006C98: 863C3CFF FFFEFFFF
	s_and_b32 s61, 0xfffeffff, s61                             // 000000006CA0: 863D3DFF FFFEFFFF
	v_cndmask_b32_e64 v71, v71, v178, s[60:61]                 // 000000006CA8: D1000047 00F36547
	s_branch label_0BD6                                        // 000000006CB0: BF820020

0000000000006cb4 <label_0BB6>:
	v_mov_b32_e32 v68, v178                                    // 000000006CB4: 7E8803B2
	v_mov_b32_e32 v69, v178                                    // 000000006CB8: 7E8A03B2
	v_mov_b32_e32 v70, v178                                    // 000000006CBC: 7E8C03B2
	v_mov_b32_e32 v71, v178                                    // 000000006CC0: 7E8E03B2
	s_branch label_0BD6                                        // 000000006CC4: BF82001B

0000000000006cc8 <label_0BBB>:
	v_cndmask_b32_e64 v72, v72, v178, s[60:61]                 // 000000006CC8: D1000048 00F36548
	s_lshl_b32 s60, s60, 1                                     // 000000006CD0: 8E3C813C
	s_lshl_b32 s61, s61, 1                                     // 000000006CD4: 8E3D813D
	s_and_b32 s60, 0xfffeffff, s60                             // 000000006CD8: 863C3CFF FFFEFFFF
	s_and_b32 s61, 0xfffeffff, s61                             // 000000006CE0: 863D3DFF FFFEFFFF
	v_cndmask_b32_e64 v73, v73, v178, s[60:61]                 // 000000006CE8: D1000049 00F36549
	s_lshl_b32 s60, s60, 1                                     // 000000006CF0: 8E3C813C
	s_lshl_b32 s61, s61, 1                                     // 000000006CF4: 8E3D813D
	s_and_b32 s60, 0xfffeffff, s60                             // 000000006CF8: 863C3CFF FFFEFFFF
	s_and_b32 s61, 0xfffeffff, s61                             // 000000006D00: 863D3DFF FFFEFFFF
	v_cndmask_b32_e64 v74, v74, v178, s[60:61]                 // 000000006D08: D100004A 00F3654A
	s_lshl_b32 s60, s60, 1                                     // 000000006D10: 8E3C813C
	s_lshl_b32 s61, s61, 1                                     // 000000006D14: 8E3D813D
	s_and_b32 s60, 0xfffeffff, s60                             // 000000006D18: 863C3CFF FFFEFFFF
	s_and_b32 s61, 0xfffeffff, s61                             // 000000006D20: 863D3DFF FFFEFFFF
	v_cndmask_b32_e64 v75, v75, v178, s[60:61]                 // 000000006D28: D100004B 00F3654B
	s_branch label_0BDB                                        // 000000006D30: BF820005

0000000000006d34 <label_0BD6>:
	v_mov_b32_e32 v72, v178                                    // 000000006D34: 7E9003B2
	v_mov_b32_e32 v73, v178                                    // 000000006D38: 7E9203B2
	v_mov_b32_e32 v74, v178                                    // 000000006D3C: 7E9403B2
	v_mov_b32_e32 v75, v178                                    // 000000006D40: 7E9603B2
	s_branch label_0BDB                                        // 000000006D44: BF820000

0000000000006d48 <label_0BDB>:
	s_cmp_lt_i32 s84, 0xc0                                     // 000000006D48: BF04FF54 000000C0
	s_cbranch_scc0 label_0C54                                  // 000000006D50: BF84006D
	s_cmp_le_i32 s84, 64                                       // 000000006D54: BF05C054
	s_cbranch_scc1 label_0BE7                                  // 000000006D58: BF850007
	s_cmp_le_i32 s84, 0x80                                     // 000000006D5C: BF05FF54 00000080
	s_cbranch_scc1 label_0C0B                                  // 000000006D64: BF85001F
	s_cmp_lt_i32 s84, 0xc0                                     // 000000006D68: BF04FF54 000000C0
	s_cbranch_scc1 label_0C2F                                  // 000000006D70: BF850040
	s_branch label_0C54                                        // 000000006D74: BF820064

0000000000006d78 <label_0BE7>:
	s_mov_b32 s60, 0                                           // 000000006D78: BEBC0080
	v_and_b32_e32 v32, 15, v0                                  // 000000006D7C: 2640008F
	v_add_u32_e64 v32, v32, s60                                // 000000006D80: D1340020 00007920
	v_mul_i32_i24_e64 v33, s46, 16                             // 000000006D88: D1060021 0001202E
	v_add_u32_e32 v32, v32, v33                                // 000000006D90: 68404320
	v_cmp_lt_u32_e64 s[60:61], v32, s84                        // 000000006D94: D0C9003C 0000A920
	s_nop 1                                                    // 000000006D9C: BF800001
	v_cndmask_b32_e64 v52, v178, v52, s[60:61]                 // 000000006DA0: D1000034 00F269B2
	v_cndmask_b32_e64 v64, v178, v64, s[60:61]                 // 000000006DA8: D1000040 00F281B2
	v_cndmask_b32_e64 v53, v178, v53, s[60:61]                 // 000000006DB0: D1000035 00F26BB2
	v_cndmask_b32_e64 v65, v178, v65, s[60:61]                 // 000000006DB8: D1000041 00F283B2
	v_cndmask_b32_e64 v54, v178, v54, s[60:61]                 // 000000006DC0: D1000036 00F26DB2
	v_cndmask_b32_e64 v66, v178, v66, s[60:61]                 // 000000006DC8: D1000042 00F285B2
	v_cndmask_b32_e64 v55, v178, v55, s[60:61]                 // 000000006DD0: D1000037 00F26FB2
	v_cndmask_b32_e64 v67, v178, v67, s[60:61]                 // 000000006DD8: D1000043 00F287B2
	s_branch label_0C26                                        // 000000006DE0: BF82001B

0000000000006de4 <label_0C0B>:
	s_mov_b32 s60, 64                                          // 000000006DE4: BEBC00C0
	v_and_b32_e32 v32, 15, v0                                  // 000000006DE8: 2640008F
	v_add_u32_e64 v32, v32, s60                                // 000000006DEC: D1340020 00007920
	v_mul_i32_i24_e64 v33, s46, 16                             // 000000006DF4: D1060021 0001202E
	v_add_u32_e32 v32, v32, v33                                // 000000006DFC: 68404320
	v_cmp_lt_u32_e64 s[60:61], v32, s84                        // 000000006E00: D0C9003C 0000A920
	s_nop 1                                                    // 000000006E08: BF800001
	v_cndmask_b32_e64 v56, v178, v56, s[60:61]                 // 000000006E0C: D1000038 00F271B2
	v_cndmask_b32_e64 v68, v178, v68, s[60:61]                 // 000000006E14: D1000044 00F289B2
	v_cndmask_b32_e64 v57, v178, v57, s[60:61]                 // 000000006E1C: D1000039 00F273B2
	v_cndmask_b32_e64 v69, v178, v69, s[60:61]                 // 000000006E24: D1000045 00F28BB2
	v_cndmask_b32_e64 v58, v178, v58, s[60:61]                 // 000000006E2C: D100003A 00F275B2
	v_cndmask_b32_e64 v70, v178, v70, s[60:61]                 // 000000006E34: D1000046 00F28DB2
	v_cndmask_b32_e64 v59, v178, v59, s[60:61]                 // 000000006E3C: D100003B 00F277B2
	v_cndmask_b32_e64 v71, v178, v71, s[60:61]                 // 000000006E44: D1000047 00F28FB2
	s_branch label_0C4B                                        // 000000006E4C: BF820025

0000000000006e50 <label_0C26>:
	v_mov_b32_e32 v56, v178                                    // 000000006E50: 7E7003B2
	v_mov_b32_e32 v68, v178                                    // 000000006E54: 7E8803B2
	v_mov_b32_e32 v57, v178                                    // 000000006E58: 7E7203B2
	v_mov_b32_e32 v69, v178                                    // 000000006E5C: 7E8A03B2
	v_mov_b32_e32 v58, v178                                    // 000000006E60: 7E7403B2
	v_mov_b32_e32 v70, v178                                    // 000000006E64: 7E8C03B2
	v_mov_b32_e32 v59, v178                                    // 000000006E68: 7E7603B2
	v_mov_b32_e32 v71, v178                                    // 000000006E6C: 7E8E03B2
	s_branch label_0C4B                                        // 000000006E70: BF82001C

0000000000006e74 <label_0C2F>:
	s_mov_b32 s60, 0x80                                        // 000000006E74: BEBC00FF 00000080
	v_and_b32_e32 v32, 15, v0                                  // 000000006E7C: 2640008F
	v_add_u32_e64 v32, v32, s60                                // 000000006E80: D1340020 00007920
	v_mul_i32_i24_e64 v33, s46, 16                             // 000000006E88: D1060021 0001202E
	v_add_u32_e32 v32, v32, v33                                // 000000006E90: 68404320
	v_cmp_lt_u32_e64 s[60:61], v32, s84                        // 000000006E94: D0C9003C 0000A920
	s_nop 1                                                    // 000000006E9C: BF800001
	v_cndmask_b32_e64 v60, v178, v60, s[60:61]                 // 000000006EA0: D100003C 00F279B2
	v_cndmask_b32_e64 v72, v178, v72, s[60:61]                 // 000000006EA8: D1000048 00F291B2
	v_cndmask_b32_e64 v61, v178, v61, s[60:61]                 // 000000006EB0: D100003D 00F27BB2
	v_cndmask_b32_e64 v73, v178, v73, s[60:61]                 // 000000006EB8: D1000049 00F293B2
	v_cndmask_b32_e64 v62, v178, v62, s[60:61]                 // 000000006EC0: D100003E 00F27DB2
	v_cndmask_b32_e64 v74, v178, v74, s[60:61]                 // 000000006EC8: D100004A 00F295B2
	v_cndmask_b32_e64 v63, v178, v63, s[60:61]                 // 000000006ED0: D100003F 00F27FB2
	v_cndmask_b32_e64 v75, v178, v75, s[60:61]                 // 000000006ED8: D100004B 00F297B2
	s_branch label_0C54                                        // 000000006EE0: BF820009

0000000000006ee4 <label_0C4B>:
	v_mov_b32_e32 v60, v178                                    // 000000006EE4: 7E7803B2
	v_mov_b32_e32 v72, v178                                    // 000000006EE8: 7E9003B2
	v_mov_b32_e32 v61, v178                                    // 000000006EEC: 7E7A03B2
	v_mov_b32_e32 v73, v178                                    // 000000006EF0: 7E9203B2
	v_mov_b32_e32 v62, v178                                    // 000000006EF4: 7E7C03B2
	v_mov_b32_e32 v74, v178                                    // 000000006EF8: 7E9403B2
	v_mov_b32_e32 v63, v178                                    // 000000006EFC: 7E7E03B2
	v_mov_b32_e32 v75, v178                                    // 000000006F00: 7E9603B2
	s_branch label_0C54                                        // 000000006F04: BF820000

0000000000006f08 <label_0C54>:
	s_addk_i32 s74, 0x1                                        // 000000006F08: B74A0001
	s_waitcnt lgkmcnt(8)                                       // 000000006F0C: BF8CC87F
	s_barrier                                                  // 000000006F10: BF8A0000
	v_mfma_f32_16x16x16_bf16 v[76:79], v[108:109], a[72:73], 0 // 000000006F14: D3E1004C 1202916C
	ds_read_b128 a[96:99], v14 offset:4352                     // 000000006F1C: DBFE1100 6000000E
	ds_read_b128 a[100:103], v14 offset:4864                   // 000000006F24: DBFE1300 6400000E
	v_mfma_f32_16x16x16_bf16 v[76:79], v[110:111], a[74:75], v[76:79]// 000000006F2C: D3E1004C 1532956E
	v_fma_f32 v52, v52, s57, -v140                             // 000000006F34: D1CB0034 86307334
	v_fma_f32 v53, v53, s57, -v141                             // 000000006F3C: D1CB0035 86347335
	v_fma_f32 v54, v54, s57, -v142                             // 000000006F44: D1CB0036 86387336
	v_fma_f32 v55, v55, s57, -v143                             // 000000006F4C: D1CB0037 863C7337
	v_fma_f32 v56, v56, s57, -v140                             // 000000006F54: D1CB0038 86307338
	v_fma_f32 v57, v57, s57, -v141                             // 000000006F5C: D1CB0039 86347339
	v_mfma_f32_16x16x16_bf16 v[76:79], v[112:113], a[76:77], v[76:79]// 000000006F64: D3E1004C 15329970
	v_fma_f32 v58, v58, s57, -v142                             // 000000006F6C: D1CB003A 8638733A
	v_fma_f32 v59, v59, s57, -v143                             // 000000006F74: D1CB003B 863C733B
	v_fma_f32 v60, v60, s57, -v140                             // 000000006F7C: D1CB003C 8630733C
	v_fma_f32 v61, v61, s57, -v141                             // 000000006F84: D1CB003D 8634733D
	v_fma_f32 v62, v62, s57, -v142                             // 000000006F8C: D1CB003E 8638733E
	v_fma_f32 v63, v63, s57, -v143                             // 000000006F94: D1CB003F 863C733F
	v_mfma_f32_16x16x16_bf16 v[76:79], v[114:115], a[78:79], v[76:79]// 000000006F9C: D3E1004C 15329D72
	v_fma_f32 v64, v64, s57, -v144                             // 000000006FA4: D1CB0040 86407340
	v_fma_f32 v65, v65, s57, -v145                             // 000000006FAC: D1CB0041 86447341
	v_fma_f32 v66, v66, s57, -v146                             // 000000006FB4: D1CB0042 86487342
	v_fma_f32 v67, v67, s57, -v147                             // 000000006FBC: D1CB0043 864C7343
	v_fma_f32 v68, v68, s57, -v144                             // 000000006FC4: D1CB0044 86407344
	v_fma_f32 v69, v69, s57, -v145                             // 000000006FCC: D1CB0045 86447345
	v_mfma_f32_16x16x16_bf16 v[80:83], v[108:109], a[80:81], 0 // 000000006FD4: D3E10050 1202A16C
	ds_read_b128 a[104:107], v14 offset:6528                   // 000000006FDC: DBFE1980 6800000E
	ds_read_b128 a[108:111], v14 offset:7040                   // 000000006FE4: DBFE1B80 6C00000E
	v_mfma_f32_16x16x16_bf16 v[80:83], v[110:111], a[82:83], v[80:83]// 000000006FEC: D3E10050 1542A56E
	v_fma_f32 v70, v70, s57, -v146                             // 000000006FF4: D1CB0046 86487346
	v_fma_f32 v71, v71, s57, -v147                             // 000000006FFC: D1CB0047 864C7347
	v_fma_f32 v72, v72, s57, -v144                             // 000000007004: D1CB0048 86407348
	v_fma_f32 v73, v73, s57, -v145                             // 00000000700C: D1CB0049 86447349
	v_fma_f32 v74, v74, s57, -v146                             // 000000007014: D1CB004A 8648734A
	v_fma_f32 v75, v75, s57, -v147                             // 00000000701C: D1CB004B 864C734B
	v_mfma_f32_16x16x16_bf16 v[80:83], v[112:113], a[84:85], v[80:83]// 000000007024: D3E10050 1542A970
	v_exp_f32_e32 v52, v52                                     // 00000000702C: 7E684134
	v_exp_f32_e32 v53, v53                                     // 000000007030: 7E6A4135
	v_mfma_f32_16x16x16_bf16 v[80:83], v[114:115], a[86:87], v[80:83]// 000000007034: D3E10050 1542AD72
	v_exp_f32_e32 v54, v54                                     // 00000000703C: 7E6C4136
	v_exp_f32_e32 v55, v55                                     // 000000007040: 7E6E4137
	v_mfma_f32_16x16x16_bf16 v[84:87], v[108:109], a[88:89], 0 // 000000007044: D3E10054 1202B16C
	ds_read_b64 v[156:157], v21 offset:31232                   // 00000000704C: D8EC7A00 9C000015
	ds_read_b64 v[158:159], v21 offset:33280                   // 000000007054: D8EC8200 9E000015
	v_mfma_f32_16x16x16_bf16 v[84:87], v[110:111], a[90:91], v[84:87]// 00000000705C: D3E10054 1552B56E
	v_exp_f32_e32 v56, v56                                     // 000000007064: 7E704138
	v_exp_f32_e32 v57, v57                                     // 000000007068: 7E724139
	v_mfma_f32_16x16x16_bf16 v[84:87], v[112:113], a[92:93], v[84:87]// 00000000706C: D3E10054 1552B970
	ds_read_b64 v[160:161], v21 offset:35328                   // 000000007074: D8EC8A00 A0000015
	ds_read_b64 v[162:163], v21 offset:37376                   // 00000000707C: D8EC9200 A2000015
	v_mfma_f32_16x16x16_bf16 v[84:87], v[114:115], a[94:95], v[84:87]// 000000007084: D3E10054 1552BD72
	v_exp_f32_e32 v58, v58                                     // 00000000708C: 7E74413A
	v_exp_f32_e32 v59, v59                                     // 000000007090: 7E76413B
	v_mfma_f32_16x16x16_bf16 v[88:91], v[116:117], a[72:73], 0 // 000000007094: D3E10058 12029174
	v_exp_f32_e32 v60, v60                                     // 00000000709C: 7E78413C
	v_exp_f32_e32 v61, v61                                     // 0000000070A0: 7E7A413D
	v_mfma_f32_16x16x16_bf16 v[88:91], v[118:119], a[74:75], v[88:91]// 0000000070A4: D3E10058 15629576
	v_exp_f32_e32 v62, v62                                     // 0000000070AC: 7E7C413E
	v_exp_f32_e32 v63, v63                                     // 0000000070B0: 7E7E413F
	v_mfma_f32_16x16x16_bf16 v[88:91], v[120:121], a[76:77], v[88:91]// 0000000070B4: D3E10058 15629978
	v_exp_f32_e32 v64, v64                                     // 0000000070BC: 7E804140
	v_exp_f32_e32 v65, v65                                     // 0000000070C0: 7E824141
	v_mfma_f32_16x16x16_bf16 v[88:91], v[122:123], a[78:79], v[88:91]// 0000000070C4: D3E10058 15629D7A
	v_exp_f32_e32 v66, v66                                     // 0000000070CC: 7E844142
	v_exp_f32_e32 v67, v67                                     // 0000000070D0: 7E864143
	v_mfma_f32_16x16x16_bf16 v[92:95], v[116:117], a[80:81], 0 // 0000000070D4: D3E1005C 1202A174
	v_exp_f32_e32 v68, v68                                     // 0000000070DC: 7E884144
	v_exp_f32_e32 v69, v69                                     // 0000000070E0: 7E8A4145
	v_mfma_f32_16x16x16_bf16 v[92:95], v[118:119], a[82:83], v[92:95]// 0000000070E4: D3E1005C 1572A576
	v_exp_f32_e32 v70, v70                                     // 0000000070EC: 7E8C4146
	v_exp_f32_e32 v71, v71                                     // 0000000070F0: 7E8E4147
	v_mfma_f32_16x16x16_bf16 v[92:95], v[120:121], a[84:85], v[92:95]// 0000000070F4: D3E1005C 1572A978
	v_exp_f32_e32 v72, v72                                     // 0000000070FC: 7E904148
	v_exp_f32_e32 v73, v73                                     // 000000007100: 7E924149
	v_mfma_f32_16x16x16_bf16 v[92:95], v[122:123], a[86:87], v[92:95]// 000000007104: D3E1005C 1572AD7A
	v_exp_f32_e32 v74, v74                                     // 00000000710C: 7E94414A
	v_exp_f32_e32 v75, v75                                     // 000000007110: 7E96414B
	v_mfma_f32_16x16x16_bf16 v[96:99], v[116:117], a[88:89], 0 // 000000007114: D3E10060 1202B174
	v_perm_b32 v164, v53, v52, s64                             // 00000000711C: D1ED00A4 01026935
	v_perm_b32 v165, v55, v54, s64                             // 000000007124: D1ED00A5 01026D37
	v_perm_b32 v166, v57, v56, s64                             // 00000000712C: D1ED00A6 01027139
	v_perm_b32 v167, v59, v58, s64                             // 000000007134: D1ED00A7 0102753B
	v_perm_b32 v168, v61, v60, s64                             // 00000000713C: D1ED00A8 0102793D
	v_perm_b32 v169, v63, v62, s64                             // 000000007144: D1ED00A9 01027D3F
	v_mfma_f32_16x16x16_bf16 v[96:99], v[118:119], a[90:91], v[96:99]// 00000000714C: D3E10060 1582B576
	v_perm_b32 v170, v65, v64, s64                             // 000000007154: D1ED00AA 01028141
	v_perm_b32 v171, v67, v66, s64                             // 00000000715C: D1ED00AB 01028543
	v_perm_b32 v172, v69, v68, s64                             // 000000007164: D1ED00AC 01028945
	v_perm_b32 v173, v71, v70, s64                             // 00000000716C: D1ED00AD 01028D47
	v_perm_b32 v174, v73, v72, s64                             // 000000007174: D1ED00AE 01029149
	v_perm_b32 v175, v75, v74, s64                             // 00000000717C: D1ED00AF 0102954B
	v_mfma_f32_16x16x16_bf16 v[96:99], v[120:121], a[92:93], v[96:99]// 000000007184: D3E10060 1582B978
	v_add_u32_e32 v6, s66, v6                                  // 00000000718C: 680C0C42
	v_add_u32_e32 v7, s66, v7                                  // 000000007190: 680E0E42
	v_add_u32_e32 v8, s66, v8                                  // 000000007194: 68101042
	v_add_u32_e32 v9, s66, v9                                  // 000000007198: 68121242
	v_mfma_f32_16x16x16_bf16 v[96:99], v[122:123], a[94:95], v[96:99]// 00000000719C: D3E10060 1582BD7A
	s_waitcnt lgkmcnt(0)                                       // 0000000071A4: BF8CC07F
	s_barrier                                                  // 0000000071A8: BF8A0000
	v_mfma_f32_16x16x16_bf16 v[180:183], v[124:125], v[164:165], v[180:183]// 0000000071AC: D3E100B4 06D3497C
	v_subrev_f32_dpp v76, v176, v76 quad_perm:[0,0,0,0] row_mask:0xf bank_mask:0xf// 0000000071B4: 069898FA FF0000B0
	v_subrev_f32_dpp v77, v176, v77 quad_perm:[1,1,1,1] row_mask:0xf bank_mask:0xf// 0000000071BC: 069A9AFA FF0055B0
	v_subrev_f32_dpp v78, v176, v78 quad_perm:[2,2,2,2] row_mask:0xf bank_mask:0xf// 0000000071C4: 069C9CFA FF00AAB0
	v_subrev_f32_dpp v79, v176, v79 quad_perm:[3,3,3,3] row_mask:0xf bank_mask:0xf// 0000000071CC: 069E9EFA FF00FFB0
	v_subrev_f32_dpp v80, v176, v80 quad_perm:[0,0,0,0] row_mask:0xf bank_mask:0xf// 0000000071D4: 06A0A0FA FF0000B0
	v_subrev_f32_dpp v81, v176, v81 quad_perm:[1,1,1,1] row_mask:0xf bank_mask:0xf// 0000000071DC: 06A2A2FA FF0055B0
	v_mfma_f32_16x16x16_bf16 v[184:187], v[126:127], v[164:165], v[184:187]// 0000000071E4: D3E100B8 06E3497E
	v_subrev_f32_dpp v82, v176, v82 quad_perm:[2,2,2,2] row_mask:0xf bank_mask:0xf// 0000000071EC: 06A4A4FA FF00AAB0
	v_subrev_f32_dpp v83, v176, v83 quad_perm:[3,3,3,3] row_mask:0xf bank_mask:0xf// 0000000071F4: 06A6A6FA FF00FFB0
	v_subrev_f32_dpp v84, v176, v84 quad_perm:[0,0,0,0] row_mask:0xf bank_mask:0xf// 0000000071FC: 06A8A8FA FF0000B0
	v_subrev_f32_dpp v85, v176, v85 quad_perm:[1,1,1,1] row_mask:0xf bank_mask:0xf// 000000007204: 06AAAAFA FF0055B0
	v_subrev_f32_dpp v86, v176, v86 quad_perm:[2,2,2,2] row_mask:0xf bank_mask:0xf// 00000000720C: 06ACACFA FF00AAB0
	v_subrev_f32_dpp v87, v176, v87 quad_perm:[3,3,3,3] row_mask:0xf bank_mask:0xf// 000000007214: 06AEAEFA FF00FFB0
	v_mfma_f32_16x16x16_bf16 v[188:191], v[128:129], v[164:165], v[188:191]// 00000000721C: D3E100BC 06F34980
	v_mul_f32_e32 v76, v52, v76                                // 000000007224: 0A989934
	v_mul_f32_e32 v77, v53, v77                                // 000000007228: 0A9A9B35
	v_mul_f32_e32 v78, v54, v78                                // 00000000722C: 0A9C9D36
	v_mul_f32_e32 v79, v55, v79                                // 000000007230: 0A9E9F37
	v_mul_f32_e32 v80, v56, v80                                // 000000007234: 0AA0A138
	v_mul_f32_e32 v81, v57, v81                                // 000000007238: 0AA2A339
	v_mfma_f32_16x16x16_bf16 v[192:195], v[130:131], v[164:165], v[192:195]// 00000000723C: D3E100C0 07034982
	v_mul_f32_e32 v82, v58, v82                                // 000000007244: 0AA4A53A
	v_mul_f32_e32 v83, v59, v83                                // 000000007248: 0AA6A73B
	v_mul_f32_e32 v84, v60, v84                                // 00000000724C: 0AA8A93C
	v_mul_f32_e32 v85, v61, v85                                // 000000007250: 0AAAAB3D
	v_mul_f32_e32 v86, v62, v86                                // 000000007254: 0AACAD3E
	v_mul_f32_e32 v87, v63, v87                                // 000000007258: 0AAEAF3F
	v_mfma_f32_16x16x16_bf16 v[196:199], v[124:125], v[166:167], v[196:199]// 00000000725C: D3E100C4 07134D7C
	v_perm_b32 v76, v77, v76, s64                              // 000000007264: D1ED004C 0102994D
	v_perm_b32 v77, v79, v78, s64                              // 00000000726C: D1ED004D 01029D4F
	v_perm_b32 v78, v81, v80, s64                              // 000000007274: D1ED004E 0102A151
	v_perm_b32 v79, v83, v82, s64                              // 00000000727C: D1ED004F 0102A553
	v_perm_b32 v80, v85, v84, s64                              // 000000007284: D1ED0050 0102A955
	v_perm_b32 v81, v87, v86, s64                              // 00000000728C: D1ED0051 0102AD57
	v_mfma_f32_16x16x16_bf16 v[200:203], v[126:127], v[166:167], v[200:203]// 000000007294: D3E100C8 07234D7E
	v_mov_b32_dpp v18, v76 quad_perm:[1,0,3,2] row_mask:0xf bank_mask:0xf// 00000000729C: 7E2402FA FF00B14C
	v_perm_b32 v52, v18, v76, v17                              // 0000000072A4: D1ED0034 04469912
	v_mov_b32_dpp v18, v77 quad_perm:[1,0,3,2] row_mask:0xf bank_mask:0xf// 0000000072AC: 7E2402FA FF00B14D
	v_perm_b32 v53, v18, v77, v17                              // 0000000072B4: D1ED0035 04469B12
	v_mov_b32_dpp v18, v78 quad_perm:[1,0,3,2] row_mask:0xf bank_mask:0xf// 0000000072BC: 7E2402FA FF00B14E
	v_perm_b32 v54, v18, v78, v17                              // 0000000072C4: D1ED0036 04469D12
	v_mfma_f32_16x16x16_bf16 v[204:207], v[128:129], v[166:167], v[204:207]// 0000000072CC: D3E100CC 07334D80
	v_mov_b32_dpp v18, v79 quad_perm:[1,0,3,2] row_mask:0xf bank_mask:0xf// 0000000072D4: 7E2402FA FF00B14F
	v_perm_b32 v55, v18, v79, v17                              // 0000000072DC: D1ED0037 04469F12
	v_mov_b32_dpp v18, v80 quad_perm:[1,0,3,2] row_mask:0xf bank_mask:0xf// 0000000072E4: 7E2402FA FF00B150
	v_perm_b32 v56, v18, v80, v17                              // 0000000072EC: D1ED0038 0446A112
	v_mov_b32_dpp v18, v81 quad_perm:[1,0,3,2] row_mask:0xf bank_mask:0xf// 0000000072F4: 7E2402FA FF00B151
	v_perm_b32 v57, v18, v81, v17                              // 0000000072FC: D1ED0039 0446A312
	v_mfma_f32_16x16x16_bf16 v[208:211], v[130:131], v[166:167], v[208:211]// 000000007304: D3E100D0 07434D82
	ds_write_b32 v20, v52 offset:17408                         // 00000000730C: D81A4400 00003414
	ds_write_b32 v20, v53 offset:17952                         // 000000007314: D81A4620 00003514
	v_mfma_f32_16x16x16_bf16 v[212:215], v[124:125], v[168:169], v[212:215]// 00000000731C: D3E100D4 0753517C
	v_subrev_f32_dpp v88, v177, v88 quad_perm:[0,0,0,0] row_mask:0xf bank_mask:0xf// 000000007324: 06B0B0FA FF0000B1
	v_subrev_f32_dpp v89, v177, v89 quad_perm:[1,1,1,1] row_mask:0xf bank_mask:0xf// 00000000732C: 06B2B2FA FF0055B1
	v_subrev_f32_dpp v90, v177, v90 quad_perm:[2,2,2,2] row_mask:0xf bank_mask:0xf// 000000007334: 06B4B4FA FF00AAB1
	v_subrev_f32_dpp v91, v177, v91 quad_perm:[3,3,3,3] row_mask:0xf bank_mask:0xf// 00000000733C: 06B6B6FA FF00FFB1
	v_subrev_f32_dpp v92, v177, v92 quad_perm:[0,0,0,0] row_mask:0xf bank_mask:0xf// 000000007344: 06B8B8FA FF0000B1
	v_subrev_f32_dpp v93, v177, v93 quad_perm:[1,1,1,1] row_mask:0xf bank_mask:0xf// 00000000734C: 06BABAFA FF0055B1
	v_mfma_f32_16x16x16_bf16 v[216:219], v[126:127], v[168:169], v[216:219]// 000000007354: D3E100D8 0763517E
	ds_write_b32 v20, v54 offset:19712                         // 00000000735C: D81A4D00 00003614
	ds_write_b32 v20, v55 offset:20256                         // 000000007364: D81A4F20 00003714
	v_mfma_f32_16x16x16_bf16 v[220:223], v[128:129], v[168:169], v[220:223]// 00000000736C: D3E100DC 07735180
	v_subrev_f32_dpp v94, v177, v94 quad_perm:[2,2,2,2] row_mask:0xf bank_mask:0xf// 000000007374: 06BCBCFA FF00AAB1
	v_subrev_f32_dpp v95, v177, v95 quad_perm:[3,3,3,3] row_mask:0xf bank_mask:0xf// 00000000737C: 06BEBEFA FF00FFB1
	v_subrev_f32_dpp v96, v177, v96 quad_perm:[0,0,0,0] row_mask:0xf bank_mask:0xf// 000000007384: 06C0C0FA FF0000B1
	v_subrev_f32_dpp v97, v177, v97 quad_perm:[1,1,1,1] row_mask:0xf bank_mask:0xf// 00000000738C: 06C2C2FA FF0055B1
	v_subrev_f32_dpp v98, v177, v98 quad_perm:[2,2,2,2] row_mask:0xf bank_mask:0xf// 000000007394: 06C4C4FA FF00AAB1
	v_subrev_f32_dpp v99, v177, v99 quad_perm:[3,3,3,3] row_mask:0xf bank_mask:0xf// 00000000739C: 06C6C6FA FF00FFB1
	v_mfma_f32_16x16x16_bf16 v[224:227], v[130:131], v[168:169], v[224:227]// 0000000073A4: D3E100E0 07835182
	ds_write_b32 v20, v56 offset:22016                         // 0000000073AC: D81A5600 00003814
	ds_write_b32 v20, v57 offset:22560                         // 0000000073B4: D81A5820 00003914
	v_mfma_f32_16x16x16_bf16 v[180:183], v[132:133], v[170:171], v[180:183]// 0000000073BC: D3E100B4 06D35584
	v_mul_f32_e32 v88, v64, v88                                // 0000000073C4: 0AB0B140
	v_mul_f32_e32 v89, v65, v89                                // 0000000073C8: 0AB2B341
	v_mul_f32_e32 v90, v66, v90                                // 0000000073CC: 0AB4B542
	v_mul_f32_e32 v91, v67, v91                                // 0000000073D0: 0AB6B743
	v_mul_f32_e32 v92, v68, v92                                // 0000000073D4: 0AB8B944
	v_mul_f32_e32 v93, v69, v93                                // 0000000073D8: 0ABABB45
	v_mfma_f32_16x16x16_bf16 v[184:187], v[134:135], v[170:171], v[184:187]// 0000000073DC: D3E100B8 06E35586
	v_mul_f32_e32 v94, v70, v94                                // 0000000073E4: 0ABCBD46
	v_mul_f32_e32 v95, v71, v95                                // 0000000073E8: 0ABEBF47
	v_mul_f32_e32 v96, v72, v96                                // 0000000073EC: 0AC0C148
	v_mul_f32_e32 v97, v73, v97                                // 0000000073F0: 0AC2C349
	v_mul_f32_e32 v98, v74, v98                                // 0000000073F4: 0AC4C54A
	v_mul_f32_e32 v99, v75, v99                                // 0000000073F8: 0AC6C74B
	v_mfma_f32_16x16x16_bf16 v[188:191], v[136:137], v[170:171], v[188:191]// 0000000073FC: D3E100BC 06F35588
	v_perm_b32 v82, v89, v88, s64                              // 000000007404: D1ED0052 0102B159
	v_perm_b32 v83, v91, v90, s64                              // 00000000740C: D1ED0053 0102B55B
	v_perm_b32 v84, v93, v92, s64                              // 000000007414: D1ED0054 0102B95D
	v_perm_b32 v85, v95, v94, s64                              // 00000000741C: D1ED0055 0102BD5F
	v_perm_b32 v86, v97, v96, s64                              // 000000007424: D1ED0056 0102C161
	v_perm_b32 v87, v99, v98, s64                              // 00000000742C: D1ED0057 0102C563
	v_mfma_f32_16x16x16_bf16 v[192:195], v[138:139], v[170:171], v[192:195]// 000000007434: D3E100C0 0703558A
	v_mov_b32_dpp v18, v82 quad_perm:[1,0,3,2] row_mask:0xf bank_mask:0xf// 00000000743C: 7E2402FA FF00B152
	v_perm_b32 v58, v18, v82, v17                              // 000000007444: D1ED003A 0446A512
	v_mov_b32_dpp v18, v83 quad_perm:[1,0,3,2] row_mask:0xf bank_mask:0xf// 00000000744C: 7E2402FA FF00B153
	v_perm_b32 v59, v18, v83, v17                              // 000000007454: D1ED003B 0446A712
	v_mov_b32_dpp v18, v84 quad_perm:[1,0,3,2] row_mask:0xf bank_mask:0xf// 00000000745C: 7E2402FA FF00B154
	v_perm_b32 v60, v18, v84, v17                              // 000000007464: D1ED003C 0446A912
	v_mfma_f32_16x16x16_bf16 v[196:199], v[132:133], v[172:173], v[196:199]// 00000000746C: D3E100C4 07135984
	v_mov_b32_dpp v18, v85 quad_perm:[1,0,3,2] row_mask:0xf bank_mask:0xf// 000000007474: 7E2402FA FF00B155
	v_perm_b32 v61, v18, v85, v17                              // 00000000747C: D1ED003D 0446AB12
	v_mov_b32_dpp v18, v86 quad_perm:[1,0,3,2] row_mask:0xf bank_mask:0xf// 000000007484: 7E2402FA FF00B156
	v_perm_b32 v62, v18, v86, v17                              // 00000000748C: D1ED003E 0446AD12
	v_mov_b32_dpp v18, v87 quad_perm:[1,0,3,2] row_mask:0xf bank_mask:0xf// 000000007494: 7E2402FA FF00B157
	v_perm_b32 v63, v18, v87, v17                              // 00000000749C: D1ED003F 0446AF12
	v_mfma_f32_16x16x16_bf16 v[200:203], v[134:135], v[172:173], v[200:203]// 0000000074A4: D3E100C8 07235986
	ds_write_b32 v20, v58 offset:24320                         // 0000000074AC: D81A5F00 00003A14
	ds_write_b32 v20, v59 offset:24864                         // 0000000074B4: D81A6120 00003B14
	v_mfma_f32_16x16x16_bf16 v[204:207], v[136:137], v[172:173], v[204:207]// 0000000074BC: D3E100CC 07335988
	v_mfma_f32_16x16x16_bf16 v[208:211], v[138:139], v[172:173], v[208:211]// 0000000074C4: D3E100D0 0743598A
	ds_write_b32 v20, v60 offset:26624                         // 0000000074CC: D81A6800 00003C14
	ds_write_b32 v20, v61 offset:27168                         // 0000000074D4: D81A6A20 00003D14
	ds_write_b32 v20, v62 offset:28928                         // 0000000074DC: D81A7100 00003E14
	ds_write_b32 v20, v63 offset:29472                         // 0000000074E4: D81A7320 00003F14
	v_mfma_f32_16x16x16_bf16 v[212:215], v[132:133], v[174:175], v[212:215]// 0000000074EC: D3E100D4 07535D84
	v_mfma_f32_16x16x16_bf16 v[216:219], v[134:135], v[174:175], v[216:219]// 0000000074F4: D3E100D8 07635D86
	ds_write_b32 v15, v100 offset:4352                         // 0000000074FC: D81A1100 0000640F
	ds_write_b32 v15, v101 offset:5408                         // 000000007504: D81A1520 0000650F
	v_mfma_f32_16x16x16_bf16 v[220:223], v[136:137], v[174:175], v[220:223]// 00000000750C: D3E100DC 07735D88
	s_nop 0                                                    // 000000007514: BF800000
	s_nop 0                                                    // 000000007518: BF800000
	s_nop 0                                                    // 00000000751C: BF800000
	v_mfma_f32_16x16x16_bf16 v[224:227], v[138:139], v[174:175], v[224:227]// 000000007520: D3E100E0 07835D8A
	ds_write_b32 v15, v102 offset:6528                         // 000000007528: D81A1980 0000660F
	ds_write_b32 v15, v103 offset:7584                         // 000000007530: D81A1DA0 0000670F
	s_barrier                                                  // 000000007538: BF8A0000
	v_mfma_f32_16x16x16_bf16 a[112:115], a[96:97], v[76:77], a[112:115]// 00000000753C: D3E18070 0DC29960
	buffer_atomic_add_f32 v156, v6, s[32:35], 0 idxen          // 000000007544: E1342000 80089C06
	v_mfma_f32_16x16x16_bf16 a[116:119], a[98:99], v[76:77], a[116:119]// 00000000754C: D3E18074 0DD29962
	ds_read_b32 v140, v23 offset:39424                         // 000000007554: D86C9A00 8C000017
	ds_read_b32 v144, v23 offset:39488                         // 00000000755C: D86C9A40 90000017
	ds_read_b32 v176, v23 offset:39680                         // 000000007564: D86C9B00 B0000017
	ds_read_b32 v177, v23 offset:39744                         // 00000000756C: D86C9B40 B1000017
	v_mfma_f32_16x16x16_bf16 a[120:123], a[100:101], v[76:77], a[120:123]// 000000007574: D3E18078 0DE29964
	s_waitcnt lgkmcnt(8)                                       // 00000000757C: BF8CC87F
	s_barrier                                                  // 000000007580: BF8A0000
	v_mfma_f32_16x16x16_bf16 a[124:127], a[102:103], v[76:77], a[124:127]// 000000007584: D3E1807C 0DF29966
	ds_read_b128 v[52:55], v19 offset:17408                    // 00000000758C: D9FE4400 34000013
	v_mfma_f32_16x16x16_bf16 a[128:131], a[96:97], v[78:79], a[128:131]// 000000007594: D3E18080 0E029D60
	v_mfma_f32_16x16x16_bf16 a[132:135], a[98:99], v[78:79], a[132:135]// 00000000759C: D3E18084 0E129D62
	ds_read_b128 v[56:59], v19 offset:18560                    // 0000000075A4: D9FE4880 38000013
	v_mfma_f32_16x16x16_bf16 a[136:139], a[100:101], v[78:79], a[136:139]// 0000000075AC: D3E18088 0E229D64
	buffer_atomic_add_f32 v157, v7, s[32:35], 0 idxen          // 0000000075B4: E1342000 80089D07
	v_mfma_f32_16x16x16_bf16 a[140:143], a[102:103], v[78:79], a[140:143]// 0000000075BC: D3E1808C 0E329D66
	ds_read_b128 v[60:63], v19 offset:19712                    // 0000000075C4: D9FE4D00 3C000013
	v_mfma_f32_16x16x16_bf16 a[144:147], a[96:97], v[80:81], a[144:147]// 0000000075CC: D3E18090 0E42A160
	v_mfma_f32_16x16x16_bf16 a[148:151], a[98:99], v[80:81], a[148:151]// 0000000075D4: D3E18094 0E52A162
	ds_read_b128 v[64:67], v19 offset:20864                    // 0000000075DC: D9FE5180 40000013
	v_mfma_f32_16x16x16_bf16 a[152:155], a[100:101], v[80:81], a[152:155]// 0000000075E4: D3E18098 0E62A164
	v_mfma_f32_16x16x16_bf16 a[156:159], a[102:103], v[80:81], a[156:159]// 0000000075EC: D3E1809C 0E72A166
	ds_read_b128 v[68:71], v19 offset:22016                    // 0000000075F4: D9FE5600 44000013
	v_mfma_f32_16x16x16_bf16 a[112:115], a[104:105], v[82:83], a[112:115]// 0000000075FC: D3E18070 0DC2A568
	buffer_atomic_add_f32 v158, v6, s[32:35], 0 idxen offset:128// 000000007604: E1342080 80089E06
	v_mfma_f32_16x16x16_bf16 a[116:119], a[106:107], v[82:83], a[116:119]// 00000000760C: D3E18074 0DD2A56A
	ds_read_b128 v[72:75], v19 offset:23168                    // 000000007614: D9FE5A80 48000013
	v_mfma_f32_16x16x16_bf16 a[120:123], a[108:109], v[82:83], a[120:123]// 00000000761C: D3E18078 0DE2A56C
	v_mfma_f32_16x16x16_bf16 a[124:127], a[110:111], v[82:83], a[124:127]// 000000007624: D3E1807C 0DF2A56E
	ds_write_b32 v15, v104 offset:13056                        // 00000000762C: D81A3300 0000680F
	v_mfma_f32_16x16x16_bf16 a[128:131], a[104:105], v[84:85], a[128:131]// 000000007634: D3E18080 0E02A968
	v_mfma_f32_16x16x16_bf16 a[132:135], a[106:107], v[84:85], a[132:135]// 00000000763C: D3E18084 0E12A96A
	ds_write_b32 v15, v105 offset:14112                        // 000000007644: D81A3720 0000690F
	v_mfma_f32_16x16x16_bf16 a[136:139], a[108:109], v[84:85], a[136:139]// 00000000764C: D3E18088 0E22A96C
	buffer_atomic_add_f32 v159, v7, s[32:35], 0 idxen offset:128// 000000007654: E1342080 80089F07
	v_mfma_f32_16x16x16_bf16 a[140:143], a[110:111], v[84:85], a[140:143]// 00000000765C: D3E1808C 0E32A96E
	ds_write_b32 v15, v106 offset:15232                        // 000000007664: D81A3B80 00006A0F
	v_mfma_f32_16x16x16_bf16 a[144:147], a[104:105], v[86:87], a[144:147]// 00000000766C: D3E18090 0E42AD68
	v_mfma_f32_16x16x16_bf16 a[148:151], a[106:107], v[86:87], a[148:151]// 000000007674: D3E18094 0E52AD6A
	ds_write_b32 v15, v107 offset:16288                        // 00000000767C: D81A3FA0 00006B0F
	v_mfma_f32_16x16x16_bf16 a[152:155], a[108:109], v[86:87], a[152:155]// 000000007684: D3E18098 0E62AD6C
	v_mfma_f32_16x16x16_bf16 a[156:159], a[110:111], v[86:87], a[156:159]// 00000000768C: D3E1809C 0E72AD6E
	s_waitcnt vmcnt(8) lgkmcnt(4)                              // 000000007694: BF8C0478
	s_barrier                                                  // 000000007698: BF8A0000
	v_mfma_f32_16x16x16_bf16 v[148:151], v[52:53], a[24:25], 0 // 00000000769C: D3E10094 12023134
	v_mul_f32_e32 v140, s48, v140                              // 0000000076A4: 0B191830
	v_mul_f32_e32 v144, s48, v144                              // 0000000076A8: 0B212030
	s_nop 0                                                    // 0000000076AC: BF800000
	v_mfma_f32_16x16x16_bf16 v[148:151], v[54:55], a[28:29], v[148:151]// 0000000076B0: D3E10094 16523936
	ds_read_b128 a[96:99], v12                                 // 0000000076B8: DBFE0000 6000000C
	buffer_load_dword v36, v1, s[8:11], 0 idxen                // 0000000076C0: E0502000 80022401
	v_mfma_f32_16x16x16_bf16 v[148:151], v[56:57], a[32:33], v[148:151]// 0000000076C8: D3E10094 16524138
	v_mfma_f32_16x16x16_bf16 v[148:151], v[58:59], a[36:37], v[148:151]// 0000000076D0: D3E10094 1652493A
	ds_read_b128 a[100:103], v12 offset:512                    // 0000000076D8: DBFE0200 6400000C
	buffer_load_dword v37, v2, s[8:11], 0 idxen                // 0000000076E0: E0502000 80022502
	v_mfma_f32_16x16x16_bf16 v[148:151], v[60:61], a[40:41], v[148:151]// 0000000076E8: D3E10094 1652513C
	v_perm_b32 v100, v41, v40, s63                             // 0000000076F0: D1ED0064 00FE5129
	v_perm_b32 v101, v41, v40, s64                             // 0000000076F8: D1ED0065 01025129
	v_mfma_f32_16x16x16_bf16 v[148:151], v[62:63], a[44:45], v[148:151]// 000000007700: D3E10094 1652593E
	ds_read_b128 a[104:107], v12 offset:2176                   // 000000007708: DBFE0880 6800000C
	buffer_load_dword v38, v3, s[8:11], 0 idxen                // 000000007710: E0502000 80022603
	v_mfma_f32_16x16x16_bf16 v[148:151], v[64:65], a[48:49], v[148:151]// 000000007718: D3E10094 16526140
	v_perm_b32 v102, v43, v42, s63                             // 000000007720: D1ED0066 00FE552B
	v_perm_b32 v103, v43, v42, s64                             // 000000007728: D1ED0067 0102552B
	v_mfma_f32_16x16x16_bf16 v[148:151], v[66:67], a[52:53], v[148:151]// 000000007730: D3E10094 16526942
	ds_read_b128 a[108:111], v12 offset:2688                   // 000000007738: DBFE0A80 6C00000C
	buffer_load_dword v39, v4, s[8:11], 0 idxen                // 000000007740: E0502000 80022704
	v_mfma_f32_16x16x16_bf16 v[148:151], v[68:69], a[56:57], v[148:151]// 000000007748: D3E10094 16527144
	v_perm_b32 v104, v49, v48, s63                             // 000000007750: D1ED0068 00FE6131
	v_perm_b32 v105, v49, v48, s64                             // 000000007758: D1ED0069 01026131
	v_mfma_f32_16x16x16_bf16 v[148:151], v[70:71], a[60:61], v[148:151]// 000000007760: D3E10094 16527946
	ds_read_b128 v[108:111], v12 offset:8704                   // 000000007768: D9FE2200 6C00000C
	buffer_load_dword v44, v232, s[20:23], 0 idxen             // 000000007770: E0502000 80052CE8
	v_mfma_f32_16x16x16_bf16 v[148:151], v[72:73], a[64:65], v[148:151]// 000000007778: D3E10094 16528148
	v_perm_b32 v106, v51, v50, s63                             // 000000007780: D1ED006A 00FE6533
	v_perm_b32 v107, v51, v50, s64                             // 000000007788: D1ED006B 01026533
	v_mfma_f32_16x16x16_bf16 v[148:151], v[74:75], a[68:69], v[148:151]// 000000007790: D3E10094 1652894A
	ds_read_b128 v[112:115], v12 offset:9216                   // 000000007798: D9FE2400 7000000C
	buffer_load_dword v45, v233, s[20:23], 0 idxen             // 0000000077A0: E0502000 80052DE9
	v_mfma_f32_16x16x16_bf16 v[152:155], v[52:53], a[26:27], 0 // 0000000077A8: D3E10098 12023534
	v_mov_b32_dpp v143, v140 quad_perm:[3,3,3,3] row_mask:0xf bank_mask:0xf// 0000000077B0: 7F1E02FA FF00FF8C
	v_mov_b32_dpp v142, v140 quad_perm:[2,2,2,2] row_mask:0xf bank_mask:0xf// 0000000077B8: 7F1C02FA FF00AA8C
	v_mov_b32_dpp v141, v140 quad_perm:[1,1,1,1] row_mask:0xf bank_mask:0xf// 0000000077C0: 7F1A02FA FF00558C
	v_mov_b32_dpp v140, v140 quad_perm:[0,0,0,0] row_mask:0xf bank_mask:0xf// 0000000077C8: 7F1802FA FF00008C
	v_mfma_f32_16x16x16_bf16 v[152:155], v[54:55], a[30:31], v[152:155]// 0000000077D0: D3E10098 16623D36
	ds_read_b128 v[116:119], v12 offset:10880                  // 0000000077D8: D9FE2A80 7400000C
	buffer_load_dword v46, v234, s[20:23], 0 idxen             // 0000000077E0: E0502000 80052EEA
	v_mfma_f32_16x16x16_bf16 v[152:155], v[56:57], a[34:35], v[152:155]// 0000000077E8: D3E10098 16624538
	v_mov_b32_dpp v147, v144 quad_perm:[3,3,3,3] row_mask:0xf bank_mask:0xf// 0000000077F0: 7F2602FA FF00FF90
	v_mov_b32_dpp v146, v144 quad_perm:[2,2,2,2] row_mask:0xf bank_mask:0xf// 0000000077F8: 7F2402FA FF00AA90
	v_mov_b32_dpp v145, v144 quad_perm:[1,1,1,1] row_mask:0xf bank_mask:0xf// 000000007800: 7F2202FA FF005590
	v_mov_b32_dpp v144, v144 quad_perm:[0,0,0,0] row_mask:0xf bank_mask:0xf// 000000007808: 7F2002FA FF000090
	s_add_u32 s60, 0x80, s59                                   // 000000007810: 803C3BFF 00000080
	v_mfma_f32_16x16x16_bf16 v[152:155], v[58:59], a[38:39], v[152:155]// 000000007818: D3E10098 16624D3A
	ds_read_b128 v[120:123], v12 offset:11392                  // 000000007820: D9FE2C80 7800000C
	buffer_load_dword v47, v235, s[20:23], 0 idxen             // 000000007828: E0502000 80052FEB
	v_mfma_f32_16x16x16_bf16 v[152:155], v[60:61], a[42:43], v[152:155]// 000000007830: D3E10098 1662553C
	s_cmp_lt_u32 s60, s58                                      // 000000007838: BF0A3A3C
	s_cselect_b32 s68, s68, 0                                  // 00000000783C: 85448044
	s_cselect_b32 s100, s100, 0                                // 000000007840: 85648064
	s_cselect_b32 s69, s69, 0                                  // 000000007844: 85458045
	v_mfma_f32_16x16x16_bf16 v[152:155], v[62:63], a[46:47], v[152:155]// 000000007848: D3E10098 16625D3E
	buffer_load_dword v11, s[24:27], 0 idxen lds               // 000000007850: E0512000 8006000B
	v_mfma_f32_16x16x16_bf16 v[152:155], v[64:65], a[50:51], v[152:155]// 000000007858: D3E10098 16626540
	v_add_u32_e32 v1, s68, v1                                  // 000000007860: 68020244
	v_add_u32_e32 v2, s68, v2                                  // 000000007864: 68040444
	;; [unrolled: 1-line block ×3, first 2 shown]
	v_add_u32_e32 v4, s68, v4                                  // 00000000786C: 68080844
	v_mfma_f32_16x16x16_bf16 v[152:155], v[66:67], a[54:55], v[152:155]// 000000007870: D3E10098 16626D42
	v_add_u32_e32 v232, s100, v232                             // 000000007878: 69D1D064
	v_add_u32_e32 v233, s100, v233                             // 00000000787C: 69D3D264
	v_add_u32_e32 v234, s100, v234                             // 000000007880: 69D5D464
	v_add_u32_e32 v235, s100, v235                             // 000000007884: 69D7D664
	v_mfma_f32_16x16x16_bf16 v[152:155], v[68:69], a[58:59], v[152:155]// 000000007888: D3E10098 16627544
	s_mov_b32 m0, s81                                          // 000000007890: BEFC0051
	v_add_u32_e32 v11, s69, v11                                // 000000007894: 68161645
	v_mfma_f32_16x16x16_bf16 v[152:155], v[70:71], a[62:63], v[152:155]// 000000007898: D3E10098 16627D46
	s_cmp_ge_u32 s59, s73                                      // 0000000078A0: BF09493B
	s_cselect_b32 s66, s67, s66                                // 0000000078A4: 85424243
	v_mfma_f32_16x16x16_bf16 v[152:155], v[72:73], a[66:67], v[152:155]// 0000000078A8: D3E10098 16628548
	s_addk_i32 s59, 0x20                                       // 0000000078B0: B73B0020
	s_nop 0                                                    // 0000000078B4: BF800000
	s_cmp_lt_i32 s59, s58                                      // 0000000078B8: BF043A3B
	v_mfma_f32_16x16x16_bf16 v[152:155], v[74:75], a[70:71], v[152:155]// 0000000078BC: D3E10098 16628D4A
	s_cbranch_scc0 label_0EC5                                  // 0000000078C4: BF840001
	s_branch label_065E                                        // 0000000078C8: BF82F7AB

00000000000078cc <label_0EC5>:
	s_nop 0                                                    // 0000000078CC: BF800000
	s_nop 0                                                    // 0000000078D0: BF800000
	s_branch label_172F                                        // 0000000078D4: BF820855

00000000000078d8 <label_0EC8>:
	s_waitcnt lgkmcnt(4)                                       // 0000000078D8: BF8CC47F
	s_barrier                                                  // 0000000078DC: BF8A0000
	v_mfma_f32_16x16x16_bf16 v[52:55], a[96:97], a[0:1], 0     // 0000000078E0: D3E10034 1A020160
	v_mul_f32_e32 v148, s47, v148                              // 0000000078E8: 0B29282F
	v_mul_f32_e32 v149, s47, v149                              // 0000000078EC: 0B2B2A2F
	v_mfma_f32_16x16x16_bf16 v[52:55], a[98:99], a[2:3], v[52:55]// 0000000078F0: D3E10034 1CD20562
	ds_write_b32 v13, v48 offset:8704                          // 0000000078F8: D81A2200 0000300D
	ds_write_b32 v13, v49 offset:9760                          // 000000007900: D81A2620 0000310D
	v_mfma_f32_16x16x16_bf16 v[52:55], a[100:101], a[4:5], v[52:55]// 000000007908: D3E10034 1CD20964
	v_mul_f32_e32 v150, s47, v150                              // 000000007910: 0B2D2C2F
	v_mul_f32_e32 v151, s47, v151                              // 000000007914: 0B2F2E2F
	v_mfma_f32_16x16x16_bf16 v[52:55], a[102:103], a[6:7], v[52:55]// 000000007918: D3E10034 1CD20D66
	ds_write_b32 v13, v50 offset:10880                         // 000000007920: D81A2A80 0000320D
	ds_write_b32 v13, v51 offset:11936                         // 000000007928: D81A2EA0 0000330D
	v_mfma_f32_16x16x16_bf16 v[56:59], a[96:97], a[8:9], 0     // 000000007930: D3E10038 1A021160
	v_mul_f32_e32 v152, s47, v152                              // 000000007938: 0B31302F
	v_mul_f32_e32 v153, s47, v153                              // 00000000793C: 0B33322F
	v_mfma_f32_16x16x16_bf16 v[56:59], a[98:99], a[10:11], v[56:59]// 000000007940: D3E10038 1CE21562
	ds_write_b64 v22, v[148:149] offset:31232                  // 000000007948: D89A7A00 00009416
	v_mfma_f32_16x16x16_bf16 v[56:59], a[100:101], a[12:13], v[56:59]// 000000007950: D3E10038 1CE21964
	v_mul_f32_e32 v154, s47, v154                              // 000000007958: 0B35342F
	v_mul_f32_e32 v155, s47, v155                              // 00000000795C: 0B37362F
	v_mfma_f32_16x16x16_bf16 v[56:59], a[102:103], a[14:15], v[56:59]// 000000007960: D3E10038 1CE21D66
	ds_write_b64 v22, v[150:151] offset:31744                  // 000000007968: D89A7C00 00009616
	v_mfma_f32_16x16x16_bf16 v[60:63], a[96:97], a[16:17], 0   // 000000007970: D3E1003C 1A022160
	buffer_atomic_add_f32 v160, v8, s[32:35], 0 idxen          // 000000007978: E1342000 8008A008
	v_mfma_f32_16x16x16_bf16 v[60:63], a[98:99], a[18:19], v[60:63]// 000000007980: D3E1003C 1CF22562
	ds_write_b64 v22, v[152:153] offset:32256                  // 000000007988: D89A7E00 00009816
	v_mfma_f32_16x16x16_bf16 v[60:63], a[100:101], a[20:21], v[60:63]// 000000007990: D3E1003C 1CF22964
	v_mfma_f32_16x16x16_bf16 v[60:63], a[102:103], a[22:23], v[60:63]// 000000007998: D3E1003C 1CF22D66
	ds_write_b64 v22, v[154:155] offset:32768                  // 0000000079A0: D89A8000 00009A16
	v_mfma_f32_16x16x16_bf16 v[64:67], a[104:105], a[0:1], 0   // 0000000079A8: D3E10040 1A020168
	buffer_atomic_add_f32 v161, v9, s[32:35], 0 idxen          // 0000000079B0: E1342000 8008A109
	v_mfma_f32_16x16x16_bf16 v[64:67], a[106:107], a[2:3], v[64:67]// 0000000079B8: D3E10040 1D02056A
	ds_read_b128 v[124:127], v14 offset:13056                  // 0000000079C0: D9FE3300 7C00000E
	ds_write_b32 v13, v40                                      // 0000000079C8: D81A0000 0000280D
	v_mfma_f32_16x16x16_bf16 v[64:67], a[108:109], a[4:5], v[64:67]// 0000000079D0: D3E10040 1D02096C
	v_mfma_f32_16x16x16_bf16 v[64:67], a[110:111], a[6:7], v[64:67]// 0000000079D8: D3E10040 1D020D6E
	v_mfma_f32_16x16x16_bf16 v[68:71], a[104:105], a[8:9], 0   // 0000000079E0: D3E10044 1A021168
	ds_read_b128 v[128:131], v14 offset:13568                  // 0000000079E8: D9FE3500 8000000E
	ds_write_b32 v13, v41 offset:1056                          // 0000000079F0: D81A0420 0000290D
	v_mfma_f32_16x16x16_bf16 v[68:71], a[106:107], a[10:11], v[68:71]// 0000000079F8: D3E10044 1D12156A
	buffer_atomic_add_f32 v162, v8, s[32:35], 0 idxen offset:128// 000000007A00: E1342080 8008A208
	v_mfma_f32_16x16x16_bf16 v[68:71], a[108:109], a[12:13], v[68:71]// 000000007A08: D3E10044 1D12196C
	v_mfma_f32_16x16x16_bf16 v[68:71], a[110:111], a[14:15], v[68:71]// 000000007A10: D3E10044 1D121D6E
	ds_read_b128 v[132:135], v14 offset:15232                  // 000000007A18: D9FE3B80 8400000E
	ds_write_b32 v13, v42 offset:2176                          // 000000007A20: D81A0880 00002A0D
	v_mfma_f32_16x16x16_bf16 v[72:75], a[104:105], a[16:17], 0 // 000000007A28: D3E10048 1A022168
	v_mfma_f32_16x16x16_bf16 v[72:75], a[106:107], a[18:19], v[72:75]// 000000007A30: D3E10048 1D22256A
	buffer_atomic_add_f32 v163, v9, s[32:35], 0 idxen offset:128// 000000007A38: E1342080 8008A309
	v_mfma_f32_16x16x16_bf16 v[72:75], a[108:109], a[20:21], v[72:75]// 000000007A40: D3E10048 1D22296C
	ds_read_b128 v[136:139], v14 offset:15744                  // 000000007A48: D9FE3D80 8800000E
	ds_write_b32 v13, v43 offset:3232                          // 000000007A50: D81A0CA0 00002B0D
	v_mfma_f32_16x16x16_bf16 v[72:75], a[110:111], a[22:23], v[72:75]// 000000007A58: D3E10048 1D222D6E
	s_cmp_lt_i32 s74, 12                                       // 000000007A60: BF048C4A
	s_cbranch_scc0 label_1012                                  // 000000007A64: BF8400E6
	s_mov_b32 s60, 0xffe0fffe                                  // 000000007A68: BEBC00FF FFE0FFFE
	s_mov_b32 s61, 0xe000fe00                                  // 000000007A70: BEBD00FF E000FE00
	s_nop 0                                                    // 000000007A78: BF800000
	s_add_u32 s62, 0, s46                                      // 000000007A7C: 803E2E80
	s_cmp_lt_i32 s74, s62                                      // 000000007A80: BF043E4A
	s_cbranch_scc1 label_0F5C                                  // 000000007A84: BF850028
	s_cmp_eq_i32 s74, s62                                      // 000000007A88: BF003E4A
	s_cbranch_scc1 label_0F41                                  // 000000007A8C: BF85000B
	s_add_u32 s62, 4, s46                                      // 000000007A90: 803E2E84
	s_cmp_lt_i32 s74, s62                                      // 000000007A94: BF043E4A
	s_cbranch_scc1 label_0F7C                                  // 000000007A98: BF850043
	s_cmp_eq_i32 s74, s62                                      // 000000007A9C: BF003E4A
	s_cbranch_scc1 label_0F61                                  // 000000007AA0: BF850026
	s_add_u32 s62, 8, s46                                      // 000000007AA4: 803E2E88
	s_cmp_lt_i32 s74, s62                                      // 000000007AA8: BF043E4A
	s_cbranch_scc1 label_0F9C                                  // 000000007AAC: BF85005E
	s_cmp_eq_i32 s74, s62                                      // 000000007AB0: BF003E4A
	s_cbranch_scc1 label_0F81                                  // 000000007AB4: BF850041
	s_branch label_0FA1                                        // 000000007AB8: BF820060

0000000000007abc <label_0F41>:
	v_cndmask_b32_e64 v52, v52, v178, s[60:61]                 // 000000007ABC: D1000034 00F36534
	s_lshl_b32 s60, s60, 1                                     // 000000007AC4: 8E3C813C
	s_lshl_b32 s61, s61, 1                                     // 000000007AC8: 8E3D813D
	s_and_b32 s60, 0xfffeffff, s60                             // 000000007ACC: 863C3CFF FFFEFFFF
	s_and_b32 s61, 0xfffeffff, s61                             // 000000007AD4: 863D3DFF FFFEFFFF
	v_cndmask_b32_e64 v53, v53, v178, s[60:61]                 // 000000007ADC: D1000035 00F36535
	s_lshl_b32 s60, s60, 1                                     // 000000007AE4: 8E3C813C
	s_lshl_b32 s61, s61, 1                                     // 000000007AE8: 8E3D813D
	s_and_b32 s60, 0xfffeffff, s60                             // 000000007AEC: 863C3CFF FFFEFFFF
	s_and_b32 s61, 0xfffeffff, s61                             // 000000007AF4: 863D3DFF FFFEFFFF
	v_cndmask_b32_e64 v54, v54, v178, s[60:61]                 // 000000007AFC: D1000036 00F36536
	s_lshl_b32 s60, s60, 1                                     // 000000007B04: 8E3C813C
	s_lshl_b32 s61, s61, 1                                     // 000000007B08: 8E3D813D
	s_and_b32 s60, 0xfffeffff, s60                             // 000000007B0C: 863C3CFF FFFEFFFF
	s_and_b32 s61, 0xfffeffff, s61                             // 000000007B14: 863D3DFF FFFEFFFF
	v_cndmask_b32_e64 v55, v55, v178, s[60:61]                 // 000000007B1C: D1000037 00F36537
	s_branch label_0F7C                                        // 000000007B24: BF820020

0000000000007b28 <label_0F5C>:
	v_mov_b32_e32 v52, v178                                    // 000000007B28: 7E6803B2
	v_mov_b32_e32 v53, v178                                    // 000000007B2C: 7E6A03B2
	v_mov_b32_e32 v54, v178                                    // 000000007B30: 7E6C03B2
	v_mov_b32_e32 v55, v178                                    // 000000007B34: 7E6E03B2
	s_branch label_0F7C                                        // 000000007B38: BF82001B

0000000000007b3c <label_0F61>:
	v_cndmask_b32_e64 v56, v56, v178, s[60:61]                 // 000000007B3C: D1000038 00F36538
	s_lshl_b32 s60, s60, 1                                     // 000000007B44: 8E3C813C
	s_lshl_b32 s61, s61, 1                                     // 000000007B48: 8E3D813D
	s_and_b32 s60, 0xfffeffff, s60                             // 000000007B4C: 863C3CFF FFFEFFFF
	s_and_b32 s61, 0xfffeffff, s61                             // 000000007B54: 863D3DFF FFFEFFFF
	v_cndmask_b32_e64 v57, v57, v178, s[60:61]                 // 000000007B5C: D1000039 00F36539
	s_lshl_b32 s60, s60, 1                                     // 000000007B64: 8E3C813C
	s_lshl_b32 s61, s61, 1                                     // 000000007B68: 8E3D813D
	s_and_b32 s60, 0xfffeffff, s60                             // 000000007B6C: 863C3CFF FFFEFFFF
	s_and_b32 s61, 0xfffeffff, s61                             // 000000007B74: 863D3DFF FFFEFFFF
	v_cndmask_b32_e64 v58, v58, v178, s[60:61]                 // 000000007B7C: D100003A 00F3653A
	s_lshl_b32 s60, s60, 1                                     // 000000007B84: 8E3C813C
	s_lshl_b32 s61, s61, 1                                     // 000000007B88: 8E3D813D
	s_and_b32 s60, 0xfffeffff, s60                             // 000000007B8C: 863C3CFF FFFEFFFF
	s_and_b32 s61, 0xfffeffff, s61                             // 000000007B94: 863D3DFF FFFEFFFF
	v_cndmask_b32_e64 v59, v59, v178, s[60:61]                 // 000000007B9C: D100003B 00F3653B
	s_branch label_0F9C                                        // 000000007BA4: BF820020

0000000000007ba8 <label_0F7C>:
	v_mov_b32_e32 v56, v178                                    // 000000007BA8: 7E7003B2
	v_mov_b32_e32 v57, v178                                    // 000000007BAC: 7E7203B2
	v_mov_b32_e32 v58, v178                                    // 000000007BB0: 7E7403B2
	v_mov_b32_e32 v59, v178                                    // 000000007BB4: 7E7603B2
	s_branch label_0F9C                                        // 000000007BB8: BF82001B

0000000000007bbc <label_0F81>:
	v_cndmask_b32_e64 v60, v60, v178, s[60:61]                 // 000000007BBC: D100003C 00F3653C
	s_lshl_b32 s60, s60, 1                                     // 000000007BC4: 8E3C813C
	s_lshl_b32 s61, s61, 1                                     // 000000007BC8: 8E3D813D
	s_and_b32 s60, 0xfffeffff, s60                             // 000000007BCC: 863C3CFF FFFEFFFF
	s_and_b32 s61, 0xfffeffff, s61                             // 000000007BD4: 863D3DFF FFFEFFFF
	v_cndmask_b32_e64 v61, v61, v178, s[60:61]                 // 000000007BDC: D100003D 00F3653D
	s_lshl_b32 s60, s60, 1                                     // 000000007BE4: 8E3C813C
	s_lshl_b32 s61, s61, 1                                     // 000000007BE8: 8E3D813D
	s_and_b32 s60, 0xfffeffff, s60                             // 000000007BEC: 863C3CFF FFFEFFFF
	s_and_b32 s61, 0xfffeffff, s61                             // 000000007BF4: 863D3DFF FFFEFFFF
	v_cndmask_b32_e64 v62, v62, v178, s[60:61]                 // 000000007BFC: D100003E 00F3653E
	s_lshl_b32 s60, s60, 1                                     // 000000007C04: 8E3C813C
	s_lshl_b32 s61, s61, 1                                     // 000000007C08: 8E3D813D
	s_and_b32 s60, 0xfffeffff, s60                             // 000000007C0C: 863C3CFF FFFEFFFF
	s_and_b32 s61, 0xfffeffff, s61                             // 000000007C14: 863D3DFF FFFEFFFF
	v_cndmask_b32_e64 v63, v63, v178, s[60:61]                 // 000000007C1C: D100003F 00F3653F
	s_branch label_0FA1                                        // 000000007C24: BF820005

0000000000007c28 <label_0F9C>:
	v_mov_b32_e32 v60, v178                                    // 000000007C28: 7E7803B2
	v_mov_b32_e32 v61, v178                                    // 000000007C2C: 7E7A03B2
	v_mov_b32_e32 v62, v178                                    // 000000007C30: 7E7C03B2
	v_mov_b32_e32 v63, v178                                    // 000000007C34: 7E7E03B2
	s_branch label_0FA1                                        // 000000007C38: BF820000

0000000000007c3c <label_0FA1>:
	s_addk_i32 s74, 0x1                                        // 000000007C3C: B74A0001
	s_add_u32 s62, 0, s46                                      // 000000007C40: 803E2E80
	s_cmp_lt_i32 s74, s62                                      // 000000007C44: BF043E4A
	s_cbranch_scc1 label_0FCD                                  // 000000007C48: BF850028
	s_cmp_eq_i32 s74, s62                                      // 000000007C4C: BF003E4A
	s_cbranch_scc1 label_0FB2                                  // 000000007C50: BF85000B
	s_add_u32 s62, 4, s46                                      // 000000007C54: 803E2E84
	s_cmp_lt_i32 s74, s62                                      // 000000007C58: BF043E4A
	s_cbranch_scc1 label_0FED                                  // 000000007C5C: BF850043
	s_cmp_eq_i32 s74, s62                                      // 000000007C60: BF003E4A
	s_cbranch_scc1 label_0FD2                                  // 000000007C64: BF850026
	s_add_u32 s62, 8, s46                                      // 000000007C68: 803E2E88
	s_cmp_lt_i32 s74, s62                                      // 000000007C6C: BF043E4A
	s_cbranch_scc1 label_100D                                  // 000000007C70: BF85005E
	s_cmp_eq_i32 s74, s62                                      // 000000007C74: BF003E4A
	s_cbranch_scc1 label_0FF2                                  // 000000007C78: BF850041
	s_branch label_1012                                        // 000000007C7C: BF820060

0000000000007c80 <label_0FB2>:
	v_cndmask_b32_e64 v64, v64, v178, s[60:61]                 // 000000007C80: D1000040 00F36540
	s_lshl_b32 s60, s60, 1                                     // 000000007C88: 8E3C813C
	s_lshl_b32 s61, s61, 1                                     // 000000007C8C: 8E3D813D
	s_and_b32 s60, 0xfffeffff, s60                             // 000000007C90: 863C3CFF FFFEFFFF
	s_and_b32 s61, 0xfffeffff, s61                             // 000000007C98: 863D3DFF FFFEFFFF
	v_cndmask_b32_e64 v65, v65, v178, s[60:61]                 // 000000007CA0: D1000041 00F36541
	s_lshl_b32 s60, s60, 1                                     // 000000007CA8: 8E3C813C
	s_lshl_b32 s61, s61, 1                                     // 000000007CAC: 8E3D813D
	s_and_b32 s60, 0xfffeffff, s60                             // 000000007CB0: 863C3CFF FFFEFFFF
	s_and_b32 s61, 0xfffeffff, s61                             // 000000007CB8: 863D3DFF FFFEFFFF
	v_cndmask_b32_e64 v66, v66, v178, s[60:61]                 // 000000007CC0: D1000042 00F36542
	s_lshl_b32 s60, s60, 1                                     // 000000007CC8: 8E3C813C
	s_lshl_b32 s61, s61, 1                                     // 000000007CCC: 8E3D813D
	s_and_b32 s60, 0xfffeffff, s60                             // 000000007CD0: 863C3CFF FFFEFFFF
	s_and_b32 s61, 0xfffeffff, s61                             // 000000007CD8: 863D3DFF FFFEFFFF
	v_cndmask_b32_e64 v67, v67, v178, s[60:61]                 // 000000007CE0: D1000043 00F36543
	s_branch label_0FED                                        // 000000007CE8: BF820020

0000000000007cec <label_0FCD>:
	v_mov_b32_e32 v64, v178                                    // 000000007CEC: 7E8003B2
	v_mov_b32_e32 v65, v178                                    // 000000007CF0: 7E8203B2
	v_mov_b32_e32 v66, v178                                    // 000000007CF4: 7E8403B2
	v_mov_b32_e32 v67, v178                                    // 000000007CF8: 7E8603B2
	s_branch label_0FED                                        // 000000007CFC: BF82001B

0000000000007d00 <label_0FD2>:
	v_cndmask_b32_e64 v68, v68, v178, s[60:61]                 // 000000007D00: D1000044 00F36544
	s_lshl_b32 s60, s60, 1                                     // 000000007D08: 8E3C813C
	s_lshl_b32 s61, s61, 1                                     // 000000007D0C: 8E3D813D
	s_and_b32 s60, 0xfffeffff, s60                             // 000000007D10: 863C3CFF FFFEFFFF
	s_and_b32 s61, 0xfffeffff, s61                             // 000000007D18: 863D3DFF FFFEFFFF
	v_cndmask_b32_e64 v69, v69, v178, s[60:61]                 // 000000007D20: D1000045 00F36545
	s_lshl_b32 s60, s60, 1                                     // 000000007D28: 8E3C813C
	s_lshl_b32 s61, s61, 1                                     // 000000007D2C: 8E3D813D
	s_and_b32 s60, 0xfffeffff, s60                             // 000000007D30: 863C3CFF FFFEFFFF
	s_and_b32 s61, 0xfffeffff, s61                             // 000000007D38: 863D3DFF FFFEFFFF
	v_cndmask_b32_e64 v70, v70, v178, s[60:61]                 // 000000007D40: D1000046 00F36546
	s_lshl_b32 s60, s60, 1                                     // 000000007D48: 8E3C813C
	s_lshl_b32 s61, s61, 1                                     // 000000007D4C: 8E3D813D
	s_and_b32 s60, 0xfffeffff, s60                             // 000000007D50: 863C3CFF FFFEFFFF
	s_and_b32 s61, 0xfffeffff, s61                             // 000000007D58: 863D3DFF FFFEFFFF
	v_cndmask_b32_e64 v71, v71, v178, s[60:61]                 // 000000007D60: D1000047 00F36547
	s_branch label_100D                                        // 000000007D68: BF820020

0000000000007d6c <label_0FED>:
	v_mov_b32_e32 v68, v178                                    // 000000007D6C: 7E8803B2
	v_mov_b32_e32 v69, v178                                    // 000000007D70: 7E8A03B2
	v_mov_b32_e32 v70, v178                                    // 000000007D74: 7E8C03B2
	v_mov_b32_e32 v71, v178                                    // 000000007D78: 7E8E03B2
	s_branch label_100D                                        // 000000007D7C: BF82001B

0000000000007d80 <label_0FF2>:
	v_cndmask_b32_e64 v72, v72, v178, s[60:61]                 // 000000007D80: D1000048 00F36548
	s_lshl_b32 s60, s60, 1                                     // 000000007D88: 8E3C813C
	s_lshl_b32 s61, s61, 1                                     // 000000007D8C: 8E3D813D
	s_and_b32 s60, 0xfffeffff, s60                             // 000000007D90: 863C3CFF FFFEFFFF
	s_and_b32 s61, 0xfffeffff, s61                             // 000000007D98: 863D3DFF FFFEFFFF
	v_cndmask_b32_e64 v73, v73, v178, s[60:61]                 // 000000007DA0: D1000049 00F36549
	s_lshl_b32 s60, s60, 1                                     // 000000007DA8: 8E3C813C
	s_lshl_b32 s61, s61, 1                                     // 000000007DAC: 8E3D813D
	s_and_b32 s60, 0xfffeffff, s60                             // 000000007DB0: 863C3CFF FFFEFFFF
	s_and_b32 s61, 0xfffeffff, s61                             // 000000007DB8: 863D3DFF FFFEFFFF
	v_cndmask_b32_e64 v74, v74, v178, s[60:61]                 // 000000007DC0: D100004A 00F3654A
	s_lshl_b32 s60, s60, 1                                     // 000000007DC8: 8E3C813C
	s_lshl_b32 s61, s61, 1                                     // 000000007DCC: 8E3D813D
	s_and_b32 s60, 0xfffeffff, s60                             // 000000007DD0: 863C3CFF FFFEFFFF
	s_and_b32 s61, 0xfffeffff, s61                             // 000000007DD8: 863D3DFF FFFEFFFF
	v_cndmask_b32_e64 v75, v75, v178, s[60:61]                 // 000000007DE0: D100004B 00F3654B
	s_branch label_1012                                        // 000000007DE8: BF820005

0000000000007dec <label_100D>:
	v_mov_b32_e32 v72, v178                                    // 000000007DEC: 7E9003B2
	v_mov_b32_e32 v73, v178                                    // 000000007DF0: 7E9203B2
	v_mov_b32_e32 v74, v178                                    // 000000007DF4: 7E9403B2
	v_mov_b32_e32 v75, v178                                    // 000000007DF8: 7E9603B2
	s_branch label_1012                                        // 000000007DFC: BF820000

0000000000007e00 <label_1012>:
	s_cmp_lt_i32 s84, 0xc0                                     // 000000007E00: BF04FF54 000000C0
	s_cbranch_scc0 label_108B                                  // 000000007E08: BF84006D
	s_cmp_le_i32 s84, 64                                       // 000000007E0C: BF05C054
	s_cbranch_scc1 label_101E                                  // 000000007E10: BF850007
	s_cmp_le_i32 s84, 0x80                                     // 000000007E14: BF05FF54 00000080
	s_cbranch_scc1 label_1042                                  // 000000007E1C: BF85001F
	s_cmp_lt_i32 s84, 0xc0                                     // 000000007E20: BF04FF54 000000C0
	s_cbranch_scc1 label_1066                                  // 000000007E28: BF850040
	s_branch label_108B                                        // 000000007E2C: BF820064

0000000000007e30 <label_101E>:
	s_mov_b32 s60, 0                                           // 000000007E30: BEBC0080
	v_and_b32_e32 v32, 15, v0                                  // 000000007E34: 2640008F
	v_add_u32_e64 v32, v32, s60                                // 000000007E38: D1340020 00007920
	v_mul_i32_i24_e64 v33, s46, 16                             // 000000007E40: D1060021 0001202E
	v_add_u32_e32 v32, v32, v33                                // 000000007E48: 68404320
	v_cmp_lt_u32_e64 s[60:61], v32, s84                        // 000000007E4C: D0C9003C 0000A920
	s_nop 1                                                    // 000000007E54: BF800001
	v_cndmask_b32_e64 v52, v178, v52, s[60:61]                 // 000000007E58: D1000034 00F269B2
	v_cndmask_b32_e64 v64, v178, v64, s[60:61]                 // 000000007E60: D1000040 00F281B2
	v_cndmask_b32_e64 v53, v178, v53, s[60:61]                 // 000000007E68: D1000035 00F26BB2
	v_cndmask_b32_e64 v65, v178, v65, s[60:61]                 // 000000007E70: D1000041 00F283B2
	v_cndmask_b32_e64 v54, v178, v54, s[60:61]                 // 000000007E78: D1000036 00F26DB2
	v_cndmask_b32_e64 v66, v178, v66, s[60:61]                 // 000000007E80: D1000042 00F285B2
	v_cndmask_b32_e64 v55, v178, v55, s[60:61]                 // 000000007E88: D1000037 00F26FB2
	v_cndmask_b32_e64 v67, v178, v67, s[60:61]                 // 000000007E90: D1000043 00F287B2
	s_branch label_105D                                        // 000000007E98: BF82001B

0000000000007e9c <label_1042>:
	s_mov_b32 s60, 64                                          // 000000007E9C: BEBC00C0
	v_and_b32_e32 v32, 15, v0                                  // 000000007EA0: 2640008F
	v_add_u32_e64 v32, v32, s60                                // 000000007EA4: D1340020 00007920
	v_mul_i32_i24_e64 v33, s46, 16                             // 000000007EAC: D1060021 0001202E
	v_add_u32_e32 v32, v32, v33                                // 000000007EB4: 68404320
	v_cmp_lt_u32_e64 s[60:61], v32, s84                        // 000000007EB8: D0C9003C 0000A920
	s_nop 1                                                    // 000000007EC0: BF800001
	v_cndmask_b32_e64 v56, v178, v56, s[60:61]                 // 000000007EC4: D1000038 00F271B2
	v_cndmask_b32_e64 v68, v178, v68, s[60:61]                 // 000000007ECC: D1000044 00F289B2
	v_cndmask_b32_e64 v57, v178, v57, s[60:61]                 // 000000007ED4: D1000039 00F273B2
	v_cndmask_b32_e64 v69, v178, v69, s[60:61]                 // 000000007EDC: D1000045 00F28BB2
	v_cndmask_b32_e64 v58, v178, v58, s[60:61]                 // 000000007EE4: D100003A 00F275B2
	v_cndmask_b32_e64 v70, v178, v70, s[60:61]                 // 000000007EEC: D1000046 00F28DB2
	v_cndmask_b32_e64 v59, v178, v59, s[60:61]                 // 000000007EF4: D100003B 00F277B2
	v_cndmask_b32_e64 v71, v178, v71, s[60:61]                 // 000000007EFC: D1000047 00F28FB2
	s_branch label_1082                                        // 000000007F04: BF820025

0000000000007f08 <label_105D>:
	v_mov_b32_e32 v56, v178                                    // 000000007F08: 7E7003B2
	v_mov_b32_e32 v68, v178                                    // 000000007F0C: 7E8803B2
	v_mov_b32_e32 v57, v178                                    // 000000007F10: 7E7203B2
	v_mov_b32_e32 v69, v178                                    // 000000007F14: 7E8A03B2
	v_mov_b32_e32 v58, v178                                    // 000000007F18: 7E7403B2
	v_mov_b32_e32 v70, v178                                    // 000000007F1C: 7E8C03B2
	v_mov_b32_e32 v59, v178                                    // 000000007F20: 7E7603B2
	v_mov_b32_e32 v71, v178                                    // 000000007F24: 7E8E03B2
	s_branch label_1082                                        // 000000007F28: BF82001C

0000000000007f2c <label_1066>:
	s_mov_b32 s60, 0x80                                        // 000000007F2C: BEBC00FF 00000080
	v_and_b32_e32 v32, 15, v0                                  // 000000007F34: 2640008F
	v_add_u32_e64 v32, v32, s60                                // 000000007F38: D1340020 00007920
	v_mul_i32_i24_e64 v33, s46, 16                             // 000000007F40: D1060021 0001202E
	v_add_u32_e32 v32, v32, v33                                // 000000007F48: 68404320
	v_cmp_lt_u32_e64 s[60:61], v32, s84                        // 000000007F4C: D0C9003C 0000A920
	s_nop 1                                                    // 000000007F54: BF800001
	v_cndmask_b32_e64 v60, v178, v60, s[60:61]                 // 000000007F58: D100003C 00F279B2
	v_cndmask_b32_e64 v72, v178, v72, s[60:61]                 // 000000007F60: D1000048 00F291B2
	v_cndmask_b32_e64 v61, v178, v61, s[60:61]                 // 000000007F68: D100003D 00F27BB2
	v_cndmask_b32_e64 v73, v178, v73, s[60:61]                 // 000000007F70: D1000049 00F293B2
	v_cndmask_b32_e64 v62, v178, v62, s[60:61]                 // 000000007F78: D100003E 00F27DB2
	v_cndmask_b32_e64 v74, v178, v74, s[60:61]                 // 000000007F80: D100004A 00F295B2
	v_cndmask_b32_e64 v63, v178, v63, s[60:61]                 // 000000007F88: D100003F 00F27FB2
	v_cndmask_b32_e64 v75, v178, v75, s[60:61]                 // 000000007F90: D100004B 00F297B2
	s_branch label_108B                                        // 000000007F98: BF820009

0000000000007f9c <label_1082>:
	v_mov_b32_e32 v60, v178                                    // 000000007F9C: 7E7803B2
	v_mov_b32_e32 v72, v178                                    // 000000007FA0: 7E9003B2
	v_mov_b32_e32 v61, v178                                    // 000000007FA4: 7E7A03B2
	v_mov_b32_e32 v73, v178                                    // 000000007FA8: 7E9203B2
	v_mov_b32_e32 v62, v178                                    // 000000007FAC: 7E7C03B2
	v_mov_b32_e32 v74, v178                                    // 000000007FB0: 7E9403B2
	v_mov_b32_e32 v63, v178                                    // 000000007FB4: 7E7E03B2
	v_mov_b32_e32 v75, v178                                    // 000000007FB8: 7E9603B2
	s_branch label_108B                                        // 000000007FBC: BF820000

0000000000007fc0 <label_108B>:
	s_addk_i32 s74, 0x1                                        // 000000007FC0: B74A0001
	s_waitcnt lgkmcnt(8)                                       // 000000007FC4: BF8CC87F
	s_barrier                                                  // 000000007FC8: BF8A0000
	v_mfma_f32_16x16x16_bf16 v[76:79], v[108:109], a[72:73], 0 // 000000007FCC: D3E1004C 1202916C
	v_fma_f32 v52, v52, s57, -v140                             // 000000007FD4: D1CB0034 86307334
	v_fma_f32 v53, v53, s57, -v141                             // 000000007FDC: D1CB0035 86347335
	v_fma_f32 v54, v54, s57, -v142                             // 000000007FE4: D1CB0036 86387336
	v_fma_f32 v55, v55, s57, -v143                             // 000000007FEC: D1CB0037 863C7337
	v_fma_f32 v56, v56, s57, -v140                             // 000000007FF4: D1CB0038 86307338
	v_fma_f32 v57, v57, s57, -v141                             // 000000007FFC: D1CB0039 86347339
	v_mfma_f32_16x16x16_bf16 v[76:79], v[110:111], a[74:75], v[76:79]// 000000008004: D3E1004C 1532956E
	ds_read_b128 a[96:99], v14 offset:4352                     // 00000000800C: DBFE1100 6000000E
	ds_read_b128 a[100:103], v14 offset:4864                   // 000000008014: DBFE1300 6400000E
	v_mfma_f32_16x16x16_bf16 v[76:79], v[112:113], a[76:77], v[76:79]// 00000000801C: D3E1004C 15329970
	v_fma_f32 v58, v58, s57, -v142                             // 000000008024: D1CB003A 8638733A
	v_fma_f32 v59, v59, s57, -v143                             // 00000000802C: D1CB003B 863C733B
	v_fma_f32 v60, v60, s57, -v140                             // 000000008034: D1CB003C 8630733C
	v_fma_f32 v61, v61, s57, -v141                             // 00000000803C: D1CB003D 8634733D
	v_fma_f32 v62, v62, s57, -v142                             // 000000008044: D1CB003E 8638733E
	v_fma_f32 v63, v63, s57, -v143                             // 00000000804C: D1CB003F 863C733F
	v_mfma_f32_16x16x16_bf16 v[76:79], v[114:115], a[78:79], v[76:79]// 000000008054: D3E1004C 15329D72
	v_fma_f32 v64, v64, s57, -v144                             // 00000000805C: D1CB0040 86407340
	v_fma_f32 v65, v65, s57, -v145                             // 000000008064: D1CB0041 86447341
	v_fma_f32 v66, v66, s57, -v146                             // 00000000806C: D1CB0042 86487342
	v_fma_f32 v67, v67, s57, -v147                             // 000000008074: D1CB0043 864C7343
	v_fma_f32 v68, v68, s57, -v144                             // 00000000807C: D1CB0044 86407344
	v_fma_f32 v69, v69, s57, -v145                             // 000000008084: D1CB0045 86447345
	v_mfma_f32_16x16x16_bf16 v[80:83], v[108:109], a[80:81], 0 // 00000000808C: D3E10050 1202A16C
	v_fma_f32 v70, v70, s57, -v146                             // 000000008094: D1CB0046 86487346
	v_fma_f32 v71, v71, s57, -v147                             // 00000000809C: D1CB0047 864C7347
	v_fma_f32 v72, v72, s57, -v144                             // 0000000080A4: D1CB0048 86407348
	v_fma_f32 v73, v73, s57, -v145                             // 0000000080AC: D1CB0049 86447349
	v_fma_f32 v74, v74, s57, -v146                             // 0000000080B4: D1CB004A 8648734A
	v_fma_f32 v75, v75, s57, -v147                             // 0000000080BC: D1CB004B 864C734B
	v_mfma_f32_16x16x16_bf16 v[80:83], v[110:111], a[82:83], v[80:83]// 0000000080C4: D3E10050 1542A56E
	ds_read_b128 a[104:107], v14 offset:6528                   // 0000000080CC: DBFE1980 6800000E
	ds_read_b128 a[108:111], v14 offset:7040                   // 0000000080D4: DBFE1B80 6C00000E
	v_mfma_f32_16x16x16_bf16 v[80:83], v[112:113], a[84:85], v[80:83]// 0000000080DC: D3E10050 1542A970
	v_exp_f32_e32 v52, v52                                     // 0000000080E4: 7E684134
	v_exp_f32_e32 v53, v53                                     // 0000000080E8: 7E6A4135
	v_mfma_f32_16x16x16_bf16 v[80:83], v[114:115], a[86:87], v[80:83]// 0000000080EC: D3E10050 1542AD72
	v_exp_f32_e32 v54, v54                                     // 0000000080F4: 7E6C4136
	v_exp_f32_e32 v55, v55                                     // 0000000080F8: 7E6E4137
	v_mfma_f32_16x16x16_bf16 v[84:87], v[108:109], a[88:89], 0 // 0000000080FC: D3E10054 1202B16C
	v_exp_f32_e32 v56, v56                                     // 000000008104: 7E704138
	v_exp_f32_e32 v57, v57                                     // 000000008108: 7E724139
	v_mfma_f32_16x16x16_bf16 v[84:87], v[110:111], a[90:91], v[84:87]// 00000000810C: D3E10054 1552B56E
	ds_read_b64 v[156:157], v21 offset:31232                   // 000000008114: D8EC7A00 9C000015
	ds_read_b64 v[158:159], v21 offset:33280                   // 00000000811C: D8EC8200 9E000015
	v_mfma_f32_16x16x16_bf16 v[84:87], v[112:113], a[92:93], v[84:87]// 000000008124: D3E10054 1552B970
	v_exp_f32_e32 v58, v58                                     // 00000000812C: 7E74413A
	v_exp_f32_e32 v59, v59                                     // 000000008130: 7E76413B
	v_mfma_f32_16x16x16_bf16 v[84:87], v[114:115], a[94:95], v[84:87]// 000000008134: D3E10054 1552BD72
	ds_read_b64 v[160:161], v21 offset:35328                   // 00000000813C: D8EC8A00 A0000015
	ds_read_b64 v[162:163], v21 offset:37376                   // 000000008144: D8EC9200 A2000015
	v_mfma_f32_16x16x16_bf16 v[88:91], v[116:117], a[72:73], 0 // 00000000814C: D3E10058 12029174
	v_exp_f32_e32 v60, v60                                     // 000000008154: 7E78413C
	v_exp_f32_e32 v61, v61                                     // 000000008158: 7E7A413D
	v_mfma_f32_16x16x16_bf16 v[88:91], v[118:119], a[74:75], v[88:91]// 00000000815C: D3E10058 15629576
	v_exp_f32_e32 v62, v62                                     // 000000008164: 7E7C413E
	v_exp_f32_e32 v63, v63                                     // 000000008168: 7E7E413F
	v_mfma_f32_16x16x16_bf16 v[88:91], v[120:121], a[76:77], v[88:91]// 00000000816C: D3E10058 15629978
	v_exp_f32_e32 v64, v64                                     // 000000008174: 7E804140
	v_exp_f32_e32 v65, v65                                     // 000000008178: 7E824141
	v_mfma_f32_16x16x16_bf16 v[88:91], v[122:123], a[78:79], v[88:91]// 00000000817C: D3E10058 15629D7A
	v_exp_f32_e32 v66, v66                                     // 000000008184: 7E844142
	v_exp_f32_e32 v67, v67                                     // 000000008188: 7E864143
	v_mfma_f32_16x16x16_bf16 v[92:95], v[116:117], a[80:81], 0 // 00000000818C: D3E1005C 1202A174
	v_exp_f32_e32 v68, v68                                     // 000000008194: 7E884144
	v_exp_f32_e32 v69, v69                                     // 000000008198: 7E8A4145
	v_mfma_f32_16x16x16_bf16 v[92:95], v[118:119], a[82:83], v[92:95]// 00000000819C: D3E1005C 1572A576
	v_exp_f32_e32 v70, v70                                     // 0000000081A4: 7E8C4146
	v_exp_f32_e32 v71, v71                                     // 0000000081A8: 7E8E4147
	v_mfma_f32_16x16x16_bf16 v[92:95], v[120:121], a[84:85], v[92:95]// 0000000081AC: D3E1005C 1572A978
	v_exp_f32_e32 v72, v72                                     // 0000000081B4: 7E904148
	v_exp_f32_e32 v73, v73                                     // 0000000081B8: 7E924149
	v_mfma_f32_16x16x16_bf16 v[92:95], v[122:123], a[86:87], v[92:95]// 0000000081BC: D3E1005C 1572AD7A
	v_exp_f32_e32 v74, v74                                     // 0000000081C4: 7E94414A
	v_exp_f32_e32 v75, v75                                     // 0000000081C8: 7E96414B
	v_mfma_f32_16x16x16_bf16 v[96:99], v[116:117], a[88:89], 0 // 0000000081CC: D3E10060 1202B174
	v_perm_b32 v164, v53, v52, s64                             // 0000000081D4: D1ED00A4 01026935
	v_perm_b32 v165, v55, v54, s64                             // 0000000081DC: D1ED00A5 01026D37
	v_perm_b32 v166, v57, v56, s64                             // 0000000081E4: D1ED00A6 01027139
	v_perm_b32 v167, v59, v58, s64                             // 0000000081EC: D1ED00A7 0102753B
	v_perm_b32 v168, v61, v60, s64                             // 0000000081F4: D1ED00A8 0102793D
	v_perm_b32 v169, v63, v62, s64                             // 0000000081FC: D1ED00A9 01027D3F
	v_mfma_f32_16x16x16_bf16 v[96:99], v[118:119], a[90:91], v[96:99]// 000000008204: D3E10060 1582B576
	v_perm_b32 v170, v65, v64, s64                             // 00000000820C: D1ED00AA 01028141
	v_perm_b32 v171, v67, v66, s64                             // 000000008214: D1ED00AB 01028543
	v_perm_b32 v172, v69, v68, s64                             // 00000000821C: D1ED00AC 01028945
	v_perm_b32 v173, v71, v70, s64                             // 000000008224: D1ED00AD 01028D47
	v_perm_b32 v174, v73, v72, s64                             // 00000000822C: D1ED00AE 01029149
	v_perm_b32 v175, v75, v74, s64                             // 000000008234: D1ED00AF 0102954B
	v_mfma_f32_16x16x16_bf16 v[96:99], v[120:121], a[92:93], v[96:99]// 00000000823C: D3E10060 1582B978
	v_add_u32_e32 v6, s66, v6                                  // 000000008244: 680C0C42
	v_add_u32_e32 v7, s66, v7                                  // 000000008248: 680E0E42
	v_add_u32_e32 v8, s66, v8                                  // 00000000824C: 68101042
	v_add_u32_e32 v9, s66, v9                                  // 000000008250: 68121242
	v_mfma_f32_16x16x16_bf16 v[96:99], v[122:123], a[94:95], v[96:99]// 000000008254: D3E10060 1582BD7A
	s_waitcnt lgkmcnt(0)                                       // 00000000825C: BF8CC07F
	s_barrier                                                  // 000000008260: BF8A0000
	v_mfma_f32_16x16x16_bf16 v[180:183], v[124:125], v[164:165], v[180:183]// 000000008264: D3E100B4 06D3497C
	v_subrev_f32_dpp v76, v176, v76 quad_perm:[0,0,0,0] row_mask:0xf bank_mask:0xf// 00000000826C: 069898FA FF0000B0
	v_subrev_f32_dpp v77, v176, v77 quad_perm:[1,1,1,1] row_mask:0xf bank_mask:0xf// 000000008274: 069A9AFA FF0055B0
	v_subrev_f32_dpp v78, v176, v78 quad_perm:[2,2,2,2] row_mask:0xf bank_mask:0xf// 00000000827C: 069C9CFA FF00AAB0
	v_subrev_f32_dpp v79, v176, v79 quad_perm:[3,3,3,3] row_mask:0xf bank_mask:0xf// 000000008284: 069E9EFA FF00FFB0
	v_subrev_f32_dpp v80, v176, v80 quad_perm:[0,0,0,0] row_mask:0xf bank_mask:0xf// 00000000828C: 06A0A0FA FF0000B0
	v_subrev_f32_dpp v81, v176, v81 quad_perm:[1,1,1,1] row_mask:0xf bank_mask:0xf// 000000008294: 06A2A2FA FF0055B0
	v_mfma_f32_16x16x16_bf16 v[184:187], v[126:127], v[164:165], v[184:187]// 00000000829C: D3E100B8 06E3497E
	v_subrev_f32_dpp v82, v176, v82 quad_perm:[2,2,2,2] row_mask:0xf bank_mask:0xf// 0000000082A4: 06A4A4FA FF00AAB0
	v_subrev_f32_dpp v83, v176, v83 quad_perm:[3,3,3,3] row_mask:0xf bank_mask:0xf// 0000000082AC: 06A6A6FA FF00FFB0
	v_subrev_f32_dpp v84, v176, v84 quad_perm:[0,0,0,0] row_mask:0xf bank_mask:0xf// 0000000082B4: 06A8A8FA FF0000B0
	v_subrev_f32_dpp v85, v176, v85 quad_perm:[1,1,1,1] row_mask:0xf bank_mask:0xf// 0000000082BC: 06AAAAFA FF0055B0
	v_subrev_f32_dpp v86, v176, v86 quad_perm:[2,2,2,2] row_mask:0xf bank_mask:0xf// 0000000082C4: 06ACACFA FF00AAB0
	v_subrev_f32_dpp v87, v176, v87 quad_perm:[3,3,3,3] row_mask:0xf bank_mask:0xf// 0000000082CC: 06AEAEFA FF00FFB0
	v_mfma_f32_16x16x16_bf16 v[188:191], v[128:129], v[164:165], v[188:191]// 0000000082D4: D3E100BC 06F34980
	v_mul_f32_e32 v76, v52, v76                                // 0000000082DC: 0A989934
	v_mul_f32_e32 v77, v53, v77                                // 0000000082E0: 0A9A9B35
	v_mul_f32_e32 v78, v54, v78                                // 0000000082E4: 0A9C9D36
	v_mul_f32_e32 v79, v55, v79                                // 0000000082E8: 0A9E9F37
	v_mul_f32_e32 v80, v56, v80                                // 0000000082EC: 0AA0A138
	v_mul_f32_e32 v81, v57, v81                                // 0000000082F0: 0AA2A339
	v_mfma_f32_16x16x16_bf16 v[192:195], v[130:131], v[164:165], v[192:195]// 0000000082F4: D3E100C0 07034982
	v_mul_f32_e32 v82, v58, v82                                // 0000000082FC: 0AA4A53A
	v_mul_f32_e32 v83, v59, v83                                // 000000008300: 0AA6A73B
	v_mul_f32_e32 v84, v60, v84                                // 000000008304: 0AA8A93C
	v_mul_f32_e32 v85, v61, v85                                // 000000008308: 0AAAAB3D
	v_mul_f32_e32 v86, v62, v86                                // 00000000830C: 0AACAD3E
	v_mul_f32_e32 v87, v63, v87                                // 000000008310: 0AAEAF3F
	v_mfma_f32_16x16x16_bf16 v[196:199], v[124:125], v[166:167], v[196:199]// 000000008314: D3E100C4 07134D7C
	v_perm_b32 v76, v77, v76, s64                              // 00000000831C: D1ED004C 0102994D
	v_perm_b32 v77, v79, v78, s64                              // 000000008324: D1ED004D 01029D4F
	v_perm_b32 v78, v81, v80, s64                              // 00000000832C: D1ED004E 0102A151
	v_perm_b32 v79, v83, v82, s64                              // 000000008334: D1ED004F 0102A553
	v_perm_b32 v80, v85, v84, s64                              // 00000000833C: D1ED0050 0102A955
	v_perm_b32 v81, v87, v86, s64                              // 000000008344: D1ED0051 0102AD57
	v_mfma_f32_16x16x16_bf16 v[200:203], v[126:127], v[166:167], v[200:203]// 00000000834C: D3E100C8 07234D7E
	v_mov_b32_dpp v18, v76 quad_perm:[1,0,3,2] row_mask:0xf bank_mask:0xf// 000000008354: 7E2402FA FF00B14C
	v_perm_b32 v52, v18, v76, v17                              // 00000000835C: D1ED0034 04469912
	v_mov_b32_dpp v18, v77 quad_perm:[1,0,3,2] row_mask:0xf bank_mask:0xf// 000000008364: 7E2402FA FF00B14D
	v_perm_b32 v53, v18, v77, v17                              // 00000000836C: D1ED0035 04469B12
	v_mov_b32_dpp v18, v78 quad_perm:[1,0,3,2] row_mask:0xf bank_mask:0xf// 000000008374: 7E2402FA FF00B14E
	v_perm_b32 v54, v18, v78, v17                              // 00000000837C: D1ED0036 04469D12
	v_mfma_f32_16x16x16_bf16 v[204:207], v[128:129], v[166:167], v[204:207]// 000000008384: D3E100CC 07334D80
	ds_write_b32 v20, v52 offset:17408                         // 00000000838C: D81A4400 00003414
	ds_write_b32 v20, v53 offset:17952                         // 000000008394: D81A4620 00003514
	v_mfma_f32_16x16x16_bf16 v[208:211], v[130:131], v[166:167], v[208:211]// 00000000839C: D3E100D0 07434D82
	v_mov_b32_dpp v18, v79 quad_perm:[1,0,3,2] row_mask:0xf bank_mask:0xf// 0000000083A4: 7E2402FA FF00B14F
	v_perm_b32 v55, v18, v79, v17                              // 0000000083AC: D1ED0037 04469F12
	v_mov_b32_dpp v18, v80 quad_perm:[1,0,3,2] row_mask:0xf bank_mask:0xf// 0000000083B4: 7E2402FA FF00B150
	v_perm_b32 v56, v18, v80, v17                              // 0000000083BC: D1ED0038 0446A112
	v_mov_b32_dpp v18, v81 quad_perm:[1,0,3,2] row_mask:0xf bank_mask:0xf// 0000000083C4: 7E2402FA FF00B151
	v_perm_b32 v57, v18, v81, v17                              // 0000000083CC: D1ED0039 0446A312
	v_mfma_f32_16x16x16_bf16 v[212:215], v[124:125], v[168:169], v[212:215]// 0000000083D4: D3E100D4 0753517C
	ds_write_b32 v20, v54 offset:19712                         // 0000000083DC: D81A4D00 00003614
	ds_write_b32 v20, v55 offset:20256                         // 0000000083E4: D81A4F20 00003714
	v_mfma_f32_16x16x16_bf16 v[216:219], v[126:127], v[168:169], v[216:219]// 0000000083EC: D3E100D8 0763517E
	v_subrev_f32_dpp v88, v177, v88 quad_perm:[0,0,0,0] row_mask:0xf bank_mask:0xf// 0000000083F4: 06B0B0FA FF0000B1
	v_subrev_f32_dpp v89, v177, v89 quad_perm:[1,1,1,1] row_mask:0xf bank_mask:0xf// 0000000083FC: 06B2B2FA FF0055B1
	v_subrev_f32_dpp v90, v177, v90 quad_perm:[2,2,2,2] row_mask:0xf bank_mask:0xf// 000000008404: 06B4B4FA FF00AAB1
	v_subrev_f32_dpp v91, v177, v91 quad_perm:[3,3,3,3] row_mask:0xf bank_mask:0xf// 00000000840C: 06B6B6FA FF00FFB1
	v_subrev_f32_dpp v92, v177, v92 quad_perm:[0,0,0,0] row_mask:0xf bank_mask:0xf// 000000008414: 06B8B8FA FF0000B1
	v_subrev_f32_dpp v93, v177, v93 quad_perm:[1,1,1,1] row_mask:0xf bank_mask:0xf// 00000000841C: 06BABAFA FF0055B1
	v_mfma_f32_16x16x16_bf16 v[220:223], v[128:129], v[168:169], v[220:223]// 000000008424: D3E100DC 07735180
	ds_write_b32 v20, v56 offset:22016                         // 00000000842C: D81A5600 00003814
	ds_write_b32 v20, v57 offset:22560                         // 000000008434: D81A5820 00003914
	v_mfma_f32_16x16x16_bf16 v[224:227], v[130:131], v[168:169], v[224:227]// 00000000843C: D3E100E0 07835182
	v_subrev_f32_dpp v94, v177, v94 quad_perm:[2,2,2,2] row_mask:0xf bank_mask:0xf// 000000008444: 06BCBCFA FF00AAB1
	v_subrev_f32_dpp v95, v177, v95 quad_perm:[3,3,3,3] row_mask:0xf bank_mask:0xf// 00000000844C: 06BEBEFA FF00FFB1
	v_subrev_f32_dpp v96, v177, v96 quad_perm:[0,0,0,0] row_mask:0xf bank_mask:0xf// 000000008454: 06C0C0FA FF0000B1
	v_subrev_f32_dpp v97, v177, v97 quad_perm:[1,1,1,1] row_mask:0xf bank_mask:0xf// 00000000845C: 06C2C2FA FF0055B1
	v_subrev_f32_dpp v98, v177, v98 quad_perm:[2,2,2,2] row_mask:0xf bank_mask:0xf// 000000008464: 06C4C4FA FF00AAB1
	v_subrev_f32_dpp v99, v177, v99 quad_perm:[3,3,3,3] row_mask:0xf bank_mask:0xf// 00000000846C: 06C6C6FA FF00FFB1
	v_mfma_f32_16x16x16_bf16 v[180:183], v[132:133], v[170:171], v[180:183]// 000000008474: D3E100B4 06D35584
	v_mul_f32_e32 v88, v64, v88                                // 00000000847C: 0AB0B140
	v_mul_f32_e32 v89, v65, v89                                // 000000008480: 0AB2B341
	v_mul_f32_e32 v90, v66, v90                                // 000000008484: 0AB4B542
	v_mul_f32_e32 v91, v67, v91                                // 000000008488: 0AB6B743
	v_mul_f32_e32 v92, v68, v92                                // 00000000848C: 0AB8B944
	v_mul_f32_e32 v93, v69, v93                                // 000000008490: 0ABABB45
	v_mfma_f32_16x16x16_bf16 v[184:187], v[134:135], v[170:171], v[184:187]// 000000008494: D3E100B8 06E35586
	v_mul_f32_e32 v94, v70, v94                                // 00000000849C: 0ABCBD46
	v_mul_f32_e32 v95, v71, v95                                // 0000000084A0: 0ABEBF47
	v_mul_f32_e32 v96, v72, v96                                // 0000000084A4: 0AC0C148
	v_mul_f32_e32 v97, v73, v97                                // 0000000084A8: 0AC2C349
	v_mul_f32_e32 v98, v74, v98                                // 0000000084AC: 0AC4C54A
	v_mul_f32_e32 v99, v75, v99                                // 0000000084B0: 0AC6C74B
	v_mfma_f32_16x16x16_bf16 v[188:191], v[136:137], v[170:171], v[188:191]// 0000000084B4: D3E100BC 06F35588
	v_perm_b32 v82, v89, v88, s64                              // 0000000084BC: D1ED0052 0102B159
	v_perm_b32 v83, v91, v90, s64                              // 0000000084C4: D1ED0053 0102B55B
	v_perm_b32 v84, v93, v92, s64                              // 0000000084CC: D1ED0054 0102B95D
	v_perm_b32 v85, v95, v94, s64                              // 0000000084D4: D1ED0055 0102BD5F
	v_perm_b32 v86, v97, v96, s64                              // 0000000084DC: D1ED0056 0102C161
	v_perm_b32 v87, v99, v98, s64                              // 0000000084E4: D1ED0057 0102C563
	v_mfma_f32_16x16x16_bf16 v[192:195], v[138:139], v[170:171], v[192:195]// 0000000084EC: D3E100C0 0703558A
	v_mov_b32_dpp v18, v82 quad_perm:[1,0,3,2] row_mask:0xf bank_mask:0xf// 0000000084F4: 7E2402FA FF00B152
	v_perm_b32 v58, v18, v82, v17                              // 0000000084FC: D1ED003A 0446A512
	v_mov_b32_dpp v18, v83 quad_perm:[1,0,3,2] row_mask:0xf bank_mask:0xf// 000000008504: 7E2402FA FF00B153
	v_perm_b32 v59, v18, v83, v17                              // 00000000850C: D1ED003B 0446A712
	v_mov_b32_dpp v18, v84 quad_perm:[1,0,3,2] row_mask:0xf bank_mask:0xf// 000000008514: 7E2402FA FF00B154
	v_perm_b32 v60, v18, v84, v17                              // 00000000851C: D1ED003C 0446A912
	v_mfma_f32_16x16x16_bf16 v[196:199], v[132:133], v[172:173], v[196:199]// 000000008524: D3E100C4 07135984
	ds_write_b32 v20, v58 offset:24320                         // 00000000852C: D81A5F00 00003A14
	ds_write_b32 v20, v59 offset:24864                         // 000000008534: D81A6120 00003B14
	v_mfma_f32_16x16x16_bf16 v[200:203], v[134:135], v[172:173], v[200:203]// 00000000853C: D3E100C8 07235986
	v_mov_b32_dpp v18, v85 quad_perm:[1,0,3,2] row_mask:0xf bank_mask:0xf// 000000008544: 7E2402FA FF00B155
	v_perm_b32 v61, v18, v85, v17                              // 00000000854C: D1ED003D 0446AB12
	v_mov_b32_dpp v18, v86 quad_perm:[1,0,3,2] row_mask:0xf bank_mask:0xf// 000000008554: 7E2402FA FF00B156
	v_perm_b32 v62, v18, v86, v17                              // 00000000855C: D1ED003E 0446AD12
	v_mov_b32_dpp v18, v87 quad_perm:[1,0,3,2] row_mask:0xf bank_mask:0xf// 000000008564: 7E2402FA FF00B157
	v_perm_b32 v63, v18, v87, v17                              // 00000000856C: D1ED003F 0446AF12
	v_mfma_f32_16x16x16_bf16 v[204:207], v[136:137], v[172:173], v[204:207]// 000000008574: D3E100CC 07335988
	ds_write_b32 v20, v60 offset:26624                         // 00000000857C: D81A6800 00003C14
	ds_write_b32 v20, v61 offset:27168                         // 000000008584: D81A6A20 00003D14
	ds_write_b32 v20, v62 offset:28928                         // 00000000858C: D81A7100 00003E14
	ds_write_b32 v20, v63 offset:29472                         // 000000008594: D81A7320 00003F14
	v_mfma_f32_16x16x16_bf16 v[208:211], v[138:139], v[172:173], v[208:211]// 00000000859C: D3E100D0 0743598A
	v_mfma_f32_16x16x16_bf16 v[212:215], v[132:133], v[174:175], v[212:215]// 0000000085A4: D3E100D4 07535D84
	ds_write_b32 v15, v100 offset:4352                         // 0000000085AC: D81A1100 0000640F
	ds_write_b32 v15, v101 offset:5408                         // 0000000085B4: D81A1520 0000650F
	v_mfma_f32_16x16x16_bf16 v[216:219], v[134:135], v[174:175], v[216:219]// 0000000085BC: D3E100D8 07635D86
	v_mfma_f32_16x16x16_bf16 v[220:223], v[136:137], v[174:175], v[220:223]// 0000000085C4: D3E100DC 07735D88
	ds_write_b32 v15, v102 offset:6528                         // 0000000085CC: D81A1980 0000660F
	ds_write_b32 v15, v103 offset:7584                         // 0000000085D4: D81A1DA0 0000670F
	v_mfma_f32_16x16x16_bf16 v[224:227], v[138:139], v[174:175], v[224:227]// 0000000085DC: D3E100E0 07835D8A
	s_nop 0                                                    // 0000000085E4: BF800000
	s_nop 0                                                    // 0000000085E8: BF800000
	s_nop 0                                                    // 0000000085EC: BF800000
	s_barrier                                                  // 0000000085F0: BF8A0000
	v_mfma_f32_16x16x16_bf16 a[112:115], a[96:97], v[76:77], a[112:115]// 0000000085F4: D3E18070 0DC29960
	ds_read_b32 v140, v23 offset:39936                         // 0000000085FC: D86C9C00 8C000017
	ds_read_b32 v144, v23 offset:40000                         // 000000008604: D86C9C40 90000017
	ds_read_b32 v176, v23 offset:40192                         // 00000000860C: D86C9D00 B0000017
	ds_read_b32 v177, v23 offset:40256                         // 000000008614: D86C9D40 B1000017
	v_mfma_f32_16x16x16_bf16 a[116:119], a[98:99], v[76:77], a[116:119]// 00000000861C: D3E18074 0DD29962
	buffer_atomic_add_f32 v156, v6, s[32:35], 0 idxen          // 000000008624: E1342000 80089C06
	v_mfma_f32_16x16x16_bf16 a[120:123], a[100:101], v[76:77], a[120:123]// 00000000862C: D3E18078 0DE29964
	s_waitcnt lgkmcnt(8)                                       // 000000008634: BF8CC87F
	s_barrier                                                  // 000000008638: BF8A0000
	v_mfma_f32_16x16x16_bf16 a[124:127], a[102:103], v[76:77], a[124:127]// 00000000863C: D3E1807C 0DF29966
	v_mfma_f32_16x16x16_bf16 a[128:131], a[96:97], v[78:79], a[128:131]// 000000008644: D3E18080 0E029D60
	ds_read_b128 v[52:55], v19 offset:17408                    // 00000000864C: D9FE4400 34000013
	v_mfma_f32_16x16x16_bf16 a[132:135], a[98:99], v[78:79], a[132:135]// 000000008654: D3E18084 0E129D62
	v_mfma_f32_16x16x16_bf16 a[136:139], a[100:101], v[78:79], a[136:139]// 00000000865C: D3E18088 0E229D64
	ds_read_b128 v[56:59], v19 offset:18560                    // 000000008664: D9FE4880 38000013
	v_mfma_f32_16x16x16_bf16 a[140:143], a[102:103], v[78:79], a[140:143]// 00000000866C: D3E1808C 0E329D66
	buffer_atomic_add_f32 v157, v7, s[32:35], 0 idxen          // 000000008674: E1342000 80089D07
	v_mfma_f32_16x16x16_bf16 a[144:147], a[96:97], v[80:81], a[144:147]// 00000000867C: D3E18090 0E42A160
	ds_read_b128 v[60:63], v19 offset:19712                    // 000000008684: D9FE4D00 3C000013
	v_mfma_f32_16x16x16_bf16 a[148:151], a[98:99], v[80:81], a[148:151]// 00000000868C: D3E18094 0E52A162
	v_mfma_f32_16x16x16_bf16 a[152:155], a[100:101], v[80:81], a[152:155]// 000000008694: D3E18098 0E62A164
	ds_read_b128 v[64:67], v19 offset:20864                    // 00000000869C: D9FE5180 40000013
	v_mfma_f32_16x16x16_bf16 a[156:159], a[102:103], v[80:81], a[156:159]// 0000000086A4: D3E1809C 0E72A166
	v_mfma_f32_16x16x16_bf16 a[112:115], a[104:105], v[82:83], a[112:115]// 0000000086AC: D3E18070 0DC2A568
	ds_read_b128 v[68:71], v19 offset:22016                    // 0000000086B4: D9FE5600 44000013
	v_mfma_f32_16x16x16_bf16 a[116:119], a[106:107], v[82:83], a[116:119]// 0000000086BC: D3E18074 0DD2A56A
	buffer_atomic_add_f32 v158, v6, s[32:35], 0 idxen offset:128// 0000000086C4: E1342080 80089E06
	v_mfma_f32_16x16x16_bf16 a[120:123], a[108:109], v[82:83], a[120:123]// 0000000086CC: D3E18078 0DE2A56C
	ds_read_b128 v[72:75], v19 offset:23168                    // 0000000086D4: D9FE5A80 48000013
	v_mfma_f32_16x16x16_bf16 a[124:127], a[110:111], v[82:83], a[124:127]// 0000000086DC: D3E1807C 0DF2A56E
	v_mfma_f32_16x16x16_bf16 a[128:131], a[104:105], v[84:85], a[128:131]// 0000000086E4: D3E18080 0E02A968
	ds_write_b32 v15, v104 offset:13056                        // 0000000086EC: D81A3300 0000680F
	v_mfma_f32_16x16x16_bf16 a[132:135], a[106:107], v[84:85], a[132:135]// 0000000086F4: D3E18084 0E12A96A
	v_mfma_f32_16x16x16_bf16 a[136:139], a[108:109], v[84:85], a[136:139]// 0000000086FC: D3E18088 0E22A96C
	ds_write_b32 v15, v105 offset:14112                        // 000000008704: D81A3720 0000690F
	v_mfma_f32_16x16x16_bf16 a[140:143], a[110:111], v[84:85], a[140:143]// 00000000870C: D3E1808C 0E32A96E
	buffer_atomic_add_f32 v159, v7, s[32:35], 0 idxen offset:128// 000000008714: E1342080 80089F07
	v_mfma_f32_16x16x16_bf16 a[144:147], a[104:105], v[86:87], a[144:147]// 00000000871C: D3E18090 0E42AD68
	ds_write_b32 v15, v106 offset:15232                        // 000000008724: D81A3B80 00006A0F
	v_mfma_f32_16x16x16_bf16 a[148:151], a[106:107], v[86:87], a[148:151]// 00000000872C: D3E18094 0E52AD6A
	v_mfma_f32_16x16x16_bf16 a[152:155], a[108:109], v[86:87], a[152:155]// 000000008734: D3E18098 0E62AD6C
	ds_write_b32 v15, v107 offset:16288                        // 00000000873C: D81A3FA0 00006B0F
	v_mfma_f32_16x16x16_bf16 a[156:159], a[110:111], v[86:87], a[156:159]// 000000008744: D3E1809C 0E72AD6E
	s_waitcnt vmcnt(8) lgkmcnt(4)                              // 00000000874C: BF8C0478
	s_barrier                                                  // 000000008750: BF8A0000
	v_mfma_f32_16x16x16_bf16 v[148:151], v[52:53], a[24:25], 0 // 000000008754: D3E10094 12023134
	ds_read_b128 a[96:99], v12                                 // 00000000875C: DBFE0000 6000000C
	buffer_load_dword v40, v1, s[8:11], 0 idxen                // 000000008764: E0502000 80022801
	v_mfma_f32_16x16x16_bf16 v[148:151], v[54:55], a[28:29], v[148:151]// 00000000876C: D3E10094 16523936
	v_mul_f32_e32 v140, s48, v140                              // 000000008774: 0B191830
	v_mul_f32_e32 v144, s48, v144                              // 000000008778: 0B212030
	s_nop 0                                                    // 00000000877C: BF800000
	v_mfma_f32_16x16x16_bf16 v[148:151], v[56:57], a[32:33], v[148:151]// 000000008780: D3E10094 16524138
	ds_read_b128 a[100:103], v12 offset:512                    // 000000008788: DBFE0200 6400000C
	buffer_load_dword v41, v2, s[8:11], 0 idxen                // 000000008790: E0502000 80022902
	v_mfma_f32_16x16x16_bf16 v[148:151], v[58:59], a[36:37], v[148:151]// 000000008798: D3E10094 1652493A
	v_mfma_f32_16x16x16_bf16 v[148:151], v[60:61], a[40:41], v[148:151]// 0000000087A0: D3E10094 1652513C
	ds_read_b128 a[104:107], v12 offset:2176                   // 0000000087A8: DBFE0880 6800000C
	buffer_load_dword v42, v3, s[8:11], 0 idxen                // 0000000087B0: E0502000 80022A03
	v_mfma_f32_16x16x16_bf16 v[148:151], v[62:63], a[44:45], v[148:151]// 0000000087B8: D3E10094 1652593E
	v_perm_b32 v100, v37, v36, s63                             // 0000000087C0: D1ED0064 00FE4925
	v_perm_b32 v101, v37, v36, s64                             // 0000000087C8: D1ED0065 01024925
	v_mfma_f32_16x16x16_bf16 v[148:151], v[64:65], a[48:49], v[148:151]// 0000000087D0: D3E10094 16526140
	ds_read_b128 a[108:111], v12 offset:2688                   // 0000000087D8: DBFE0A80 6C00000C
	buffer_load_dword v43, v4, s[8:11], 0 idxen                // 0000000087E0: E0502000 80022B04
	v_mfma_f32_16x16x16_bf16 v[148:151], v[66:67], a[52:53], v[148:151]// 0000000087E8: D3E10094 16526942
	v_perm_b32 v102, v39, v38, s63                             // 0000000087F0: D1ED0066 00FE4D27
	v_perm_b32 v103, v39, v38, s64                             // 0000000087F8: D1ED0067 01024D27
	v_mfma_f32_16x16x16_bf16 v[148:151], v[68:69], a[56:57], v[148:151]// 000000008800: D3E10094 16527144
	ds_read_b128 v[108:111], v12 offset:8704                   // 000000008808: D9FE2200 6C00000C
	buffer_load_dword v48, v232, s[20:23], 0 idxen             // 000000008810: E0502000 800530E8
	v_mfma_f32_16x16x16_bf16 v[148:151], v[70:71], a[60:61], v[148:151]// 000000008818: D3E10094 16527946
	v_perm_b32 v104, v45, v44, s63                             // 000000008820: D1ED0068 00FE592D
	v_perm_b32 v105, v45, v44, s64                             // 000000008828: D1ED0069 0102592D
	v_mfma_f32_16x16x16_bf16 v[148:151], v[72:73], a[64:65], v[148:151]// 000000008830: D3E10094 16528148
	ds_read_b128 v[112:115], v12 offset:9216                   // 000000008838: D9FE2400 7000000C
	buffer_load_dword v49, v233, s[20:23], 0 idxen             // 000000008840: E0502000 800531E9
	v_mfma_f32_16x16x16_bf16 v[148:151], v[74:75], a[68:69], v[148:151]// 000000008848: D3E10094 1652894A
	v_perm_b32 v106, v47, v46, s63                             // 000000008850: D1ED006A 00FE5D2F
	v_perm_b32 v107, v47, v46, s64                             // 000000008858: D1ED006B 01025D2F
	v_mfma_f32_16x16x16_bf16 v[152:155], v[52:53], a[26:27], 0 // 000000008860: D3E10098 12023534
	ds_read_b128 v[116:119], v12 offset:10880                  // 000000008868: D9FE2A80 7400000C
	buffer_load_dword v50, v234, s[20:23], 0 idxen             // 000000008870: E0502000 800532EA
	v_mfma_f32_16x16x16_bf16 v[152:155], v[54:55], a[30:31], v[152:155]// 000000008878: D3E10098 16623D36
	v_mov_b32_dpp v143, v140 quad_perm:[3,3,3,3] row_mask:0xf bank_mask:0xf// 000000008880: 7F1E02FA FF00FF8C
	v_mov_b32_dpp v142, v140 quad_perm:[2,2,2,2] row_mask:0xf bank_mask:0xf// 000000008888: 7F1C02FA FF00AA8C
	v_mov_b32_dpp v141, v140 quad_perm:[1,1,1,1] row_mask:0xf bank_mask:0xf// 000000008890: 7F1A02FA FF00558C
	v_mov_b32_dpp v140, v140 quad_perm:[0,0,0,0] row_mask:0xf bank_mask:0xf// 000000008898: 7F1802FA FF00008C
	v_mfma_f32_16x16x16_bf16 v[152:155], v[56:57], a[34:35], v[152:155]// 0000000088A0: D3E10098 16624538
	ds_read_b128 v[120:123], v12 offset:11392                  // 0000000088A8: D9FE2C80 7800000C
	buffer_load_dword v51, v235, s[20:23], 0 idxen             // 0000000088B0: E0502000 800533EB
	v_mfma_f32_16x16x16_bf16 v[152:155], v[58:59], a[38:39], v[152:155]// 0000000088B8: D3E10098 16624D3A
	v_mov_b32_dpp v147, v144 quad_perm:[3,3,3,3] row_mask:0xf bank_mask:0xf// 0000000088C0: 7F2602FA FF00FF90
	v_mov_b32_dpp v146, v144 quad_perm:[2,2,2,2] row_mask:0xf bank_mask:0xf// 0000000088C8: 7F2402FA FF00AA90
	v_mov_b32_dpp v145, v144 quad_perm:[1,1,1,1] row_mask:0xf bank_mask:0xf// 0000000088D0: 7F2202FA FF005590
	v_mov_b32_dpp v144, v144 quad_perm:[0,0,0,0] row_mask:0xf bank_mask:0xf// 0000000088D8: 7F2002FA FF000090
	s_add_u32 s60, 0x80, s59                                   // 0000000088E0: 803C3BFF 00000080
	v_mfma_f32_16x16x16_bf16 v[152:155], v[60:61], a[42:43], v[152:155]// 0000000088E8: D3E10098 1662553C
	buffer_load_dword v11, s[24:27], 0 idxen lds               // 0000000088F0: E0512000 8006000B
	v_mfma_f32_16x16x16_bf16 v[152:155], v[62:63], a[46:47], v[152:155]// 0000000088F8: D3E10098 16625D3E
	s_cmp_lt_u32 s60, s58                                      // 000000008900: BF0A3A3C
	s_cselect_b32 s68, s68, 0                                  // 000000008904: 85448044
	s_cselect_b32 s100, s100, 0                                // 000000008908: 85648064
	s_cselect_b32 s69, s69, 0                                  // 00000000890C: 85458045
	v_mfma_f32_16x16x16_bf16 v[152:155], v[64:65], a[50:51], v[152:155]// 000000008910: D3E10098 16626540
	v_add_u32_e32 v1, s68, v1                                  // 000000008918: 68020244
	v_add_u32_e32 v2, s68, v2                                  // 00000000891C: 68040444
	v_add_u32_e32 v3, s68, v3                                  // 000000008920: 68060644
	v_add_u32_e32 v4, s68, v4                                  // 000000008924: 68080844
	v_mfma_f32_16x16x16_bf16 v[152:155], v[66:67], a[54:55], v[152:155]// 000000008928: D3E10098 16626D42
	v_add_u32_e32 v232, s100, v232                             // 000000008930: 69D1D064
	v_add_u32_e32 v233, s100, v233                             // 000000008934: 69D3D264
	v_add_u32_e32 v234, s100, v234                             // 000000008938: 69D5D464
	v_add_u32_e32 v235, s100, v235                             // 00000000893C: 69D7D664
	v_mfma_f32_16x16x16_bf16 v[152:155], v[68:69], a[58:59], v[152:155]// 000000008940: D3E10098 16627544
	s_mov_b32 m0, s80                                          // 000000008948: BEFC0050
	v_add_u32_e32 v11, s69, v11                                // 00000000894C: 68161645
	v_mfma_f32_16x16x16_bf16 v[152:155], v[70:71], a[62:63], v[152:155]// 000000008950: D3E10098 16627D46
	s_cmp_ge_u32 s59, s73                                      // 000000008958: BF09493B
	s_cselect_b32 s66, s67, s66                                // 00000000895C: 85424243
	v_mfma_f32_16x16x16_bf16 v[152:155], v[72:73], a[66:67], v[152:155]// 000000008960: D3E10098 16628548
	s_addk_i32 s59, 0x20                                       // 000000008968: B73B0020
	s_nop 0                                                    // 00000000896C: BF800000
	s_cmp_lt_i32 s59, s58                                      // 000000008970: BF043A3B
	v_mfma_f32_16x16x16_bf16 v[152:155], v[74:75], a[70:71], v[152:155]// 000000008974: D3E10098 16628D4A
	s_cbranch_scc0 label_0EC5                                  // 00000000897C: BF84FBD3
	s_waitcnt lgkmcnt(4)                                       // 000000008980: BF8CC47F
	s_barrier                                                  // 000000008984: BF8A0000
	v_mfma_f32_16x16x16_bf16 v[52:55], a[96:97], a[0:1], 0     // 000000008988: D3E10034 1A020160
	v_mul_f32_e32 v148, s47, v148                              // 000000008990: 0B29282F
	v_mul_f32_e32 v149, s47, v149                              // 000000008994: 0B2B2A2F
	v_mfma_f32_16x16x16_bf16 v[52:55], a[98:99], a[2:3], v[52:55]// 000000008998: D3E10034 1CD20562
	ds_write_b32 v13, v44 offset:8704                          // 0000000089A0: D81A2200 00002C0D
	ds_write_b32 v13, v45 offset:9760                          // 0000000089A8: D81A2620 00002D0D
	v_mfma_f32_16x16x16_bf16 v[52:55], a[100:101], a[4:5], v[52:55]// 0000000089B0: D3E10034 1CD20964
	v_mul_f32_e32 v150, s47, v150                              // 0000000089B8: 0B2D2C2F
	v_mul_f32_e32 v151, s47, v151                              // 0000000089BC: 0B2F2E2F
	v_mfma_f32_16x16x16_bf16 v[52:55], a[102:103], a[6:7], v[52:55]// 0000000089C0: D3E10034 1CD20D66
	ds_write_b32 v13, v46 offset:10880                         // 0000000089C8: D81A2A80 00002E0D
	ds_write_b32 v13, v47 offset:11936                         // 0000000089D0: D81A2EA0 00002F0D
	v_mfma_f32_16x16x16_bf16 v[56:59], a[96:97], a[8:9], 0     // 0000000089D8: D3E10038 1A021160
	v_mul_f32_e32 v152, s47, v152                              // 0000000089E0: 0B31302F
	v_mul_f32_e32 v153, s47, v153                              // 0000000089E4: 0B33322F
	v_mfma_f32_16x16x16_bf16 v[56:59], a[98:99], a[10:11], v[56:59]// 0000000089E8: D3E10038 1CE21562
	ds_write_b64 v22, v[148:149] offset:31232                  // 0000000089F0: D89A7A00 00009416
	v_mfma_f32_16x16x16_bf16 v[56:59], a[100:101], a[12:13], v[56:59]// 0000000089F8: D3E10038 1CE21964
	v_mul_f32_e32 v154, s47, v154                              // 000000008A00: 0B35342F
	v_mul_f32_e32 v155, s47, v155                              // 000000008A04: 0B37362F
	v_mfma_f32_16x16x16_bf16 v[56:59], a[102:103], a[14:15], v[56:59]// 000000008A08: D3E10038 1CE21D66
	ds_write_b64 v22, v[150:151] offset:31744                  // 000000008A10: D89A7C00 00009616
	v_mfma_f32_16x16x16_bf16 v[60:63], a[96:97], a[16:17], 0   // 000000008A18: D3E1003C 1A022160
	buffer_atomic_add_f32 v160, v8, s[32:35], 0 idxen          // 000000008A20: E1342000 8008A008
	v_mfma_f32_16x16x16_bf16 v[60:63], a[98:99], a[18:19], v[60:63]// 000000008A28: D3E1003C 1CF22562
	ds_write_b64 v22, v[152:153] offset:32256                  // 000000008A30: D89A7E00 00009816
	v_mfma_f32_16x16x16_bf16 v[60:63], a[100:101], a[20:21], v[60:63]// 000000008A38: D3E1003C 1CF22964
	v_mfma_f32_16x16x16_bf16 v[60:63], a[102:103], a[22:23], v[60:63]// 000000008A40: D3E1003C 1CF22D66
	ds_write_b64 v22, v[154:155] offset:32768                  // 000000008A48: D89A8000 00009A16
	v_mfma_f32_16x16x16_bf16 v[64:67], a[104:105], a[0:1], 0   // 000000008A50: D3E10040 1A020168
	buffer_atomic_add_f32 v161, v9, s[32:35], 0 idxen          // 000000008A58: E1342000 8008A109
	v_mfma_f32_16x16x16_bf16 v[64:67], a[106:107], a[2:3], v[64:67]// 000000008A60: D3E10040 1D02056A
	ds_read_b128 v[124:127], v14 offset:13056                  // 000000008A68: D9FE3300 7C00000E
	ds_write_b32 v13, v36                                      // 000000008A70: D81A0000 0000240D
	v_mfma_f32_16x16x16_bf16 v[64:67], a[108:109], a[4:5], v[64:67]// 000000008A78: D3E10040 1D02096C
	v_mfma_f32_16x16x16_bf16 v[64:67], a[110:111], a[6:7], v[64:67]// 000000008A80: D3E10040 1D020D6E
	v_mfma_f32_16x16x16_bf16 v[68:71], a[104:105], a[8:9], 0   // 000000008A88: D3E10044 1A021168
	ds_read_b128 v[128:131], v14 offset:13568                  // 000000008A90: D9FE3500 8000000E
	ds_write_b32 v13, v37 offset:1056                          // 000000008A98: D81A0420 0000250D
	v_mfma_f32_16x16x16_bf16 v[68:71], a[106:107], a[10:11], v[68:71]// 000000008AA0: D3E10044 1D12156A
	buffer_atomic_add_f32 v162, v8, s[32:35], 0 idxen offset:128// 000000008AA8: E1342080 8008A208
	v_mfma_f32_16x16x16_bf16 v[68:71], a[108:109], a[12:13], v[68:71]// 000000008AB0: D3E10044 1D12196C
	v_mfma_f32_16x16x16_bf16 v[68:71], a[110:111], a[14:15], v[68:71]// 000000008AB8: D3E10044 1D121D6E
	ds_read_b128 v[132:135], v14 offset:15232                  // 000000008AC0: D9FE3B80 8400000E
	ds_write_b32 v13, v38 offset:2176                          // 000000008AC8: D81A0880 0000260D
	v_mfma_f32_16x16x16_bf16 v[72:75], a[104:105], a[16:17], 0 // 000000008AD0: D3E10048 1A022168
	v_mfma_f32_16x16x16_bf16 v[72:75], a[106:107], a[18:19], v[72:75]// 000000008AD8: D3E10048 1D22256A
	buffer_atomic_add_f32 v163, v9, s[32:35], 0 idxen offset:128// 000000008AE0: E1342080 8008A309
	v_mfma_f32_16x16x16_bf16 v[72:75], a[108:109], a[20:21], v[72:75]// 000000008AE8: D3E10048 1D22296C
	ds_read_b128 v[136:139], v14 offset:15744                  // 000000008AF0: D9FE3D80 8800000E
	ds_write_b32 v13, v39 offset:3232                          // 000000008AF8: D81A0CA0 0000270D
	v_mfma_f32_16x16x16_bf16 v[72:75], a[110:111], a[22:23], v[72:75]// 000000008B00: D3E10048 1D222D6E
	s_cmp_lt_i32 s74, 12                                       // 000000008B08: BF048C4A
	s_cbranch_scc0 label_1445                                  // 000000008B0C: BF8400E6
	s_mov_b32 s60, 0xffe0fffe                                  // 000000008B10: BEBC00FF FFE0FFFE
	s_mov_b32 s61, 0xe000fe00                                  // 000000008B18: BEBD00FF E000FE00
	s_nop 0                                                    // 000000008B20: BF800000
	s_add_u32 s62, 0, s46                                      // 000000008B24: 803E2E80
	s_cmp_lt_i32 s74, s62                                      // 000000008B28: BF043E4A
	s_cbranch_scc1 label_138F                                  // 000000008B2C: BF850028
	s_cmp_eq_i32 s74, s62                                      // 000000008B30: BF003E4A
	s_cbranch_scc1 label_1374                                  // 000000008B34: BF85000B
	s_add_u32 s62, 4, s46                                      // 000000008B38: 803E2E84
	s_cmp_lt_i32 s74, s62                                      // 000000008B3C: BF043E4A
	s_cbranch_scc1 label_13AF                                  // 000000008B40: BF850043
	s_cmp_eq_i32 s74, s62                                      // 000000008B44: BF003E4A
	s_cbranch_scc1 label_1394                                  // 000000008B48: BF850026
	s_add_u32 s62, 8, s46                                      // 000000008B4C: 803E2E88
	s_cmp_lt_i32 s74, s62                                      // 000000008B50: BF043E4A
	s_cbranch_scc1 label_13CF                                  // 000000008B54: BF85005E
	s_cmp_eq_i32 s74, s62                                      // 000000008B58: BF003E4A
	s_cbranch_scc1 label_13B4                                  // 000000008B5C: BF850041
	s_branch label_13D4                                        // 000000008B60: BF820060

0000000000008b64 <label_1374>:
	v_cndmask_b32_e64 v52, v52, v178, s[60:61]                 // 000000008B64: D1000034 00F36534
	s_lshl_b32 s60, s60, 1                                     // 000000008B6C: 8E3C813C
	s_lshl_b32 s61, s61, 1                                     // 000000008B70: 8E3D813D
	s_and_b32 s60, 0xfffeffff, s60                             // 000000008B74: 863C3CFF FFFEFFFF
	s_and_b32 s61, 0xfffeffff, s61                             // 000000008B7C: 863D3DFF FFFEFFFF
	v_cndmask_b32_e64 v53, v53, v178, s[60:61]                 // 000000008B84: D1000035 00F36535
	s_lshl_b32 s60, s60, 1                                     // 000000008B8C: 8E3C813C
	s_lshl_b32 s61, s61, 1                                     // 000000008B90: 8E3D813D
	s_and_b32 s60, 0xfffeffff, s60                             // 000000008B94: 863C3CFF FFFEFFFF
	s_and_b32 s61, 0xfffeffff, s61                             // 000000008B9C: 863D3DFF FFFEFFFF
	v_cndmask_b32_e64 v54, v54, v178, s[60:61]                 // 000000008BA4: D1000036 00F36536
	s_lshl_b32 s60, s60, 1                                     // 000000008BAC: 8E3C813C
	s_lshl_b32 s61, s61, 1                                     // 000000008BB0: 8E3D813D
	s_and_b32 s60, 0xfffeffff, s60                             // 000000008BB4: 863C3CFF FFFEFFFF
	s_and_b32 s61, 0xfffeffff, s61                             // 000000008BBC: 863D3DFF FFFEFFFF
	v_cndmask_b32_e64 v55, v55, v178, s[60:61]                 // 000000008BC4: D1000037 00F36537
	s_branch label_13AF                                        // 000000008BCC: BF820020

0000000000008bd0 <label_138F>:
	v_mov_b32_e32 v52, v178                                    // 000000008BD0: 7E6803B2
	v_mov_b32_e32 v53, v178                                    // 000000008BD4: 7E6A03B2
	v_mov_b32_e32 v54, v178                                    // 000000008BD8: 7E6C03B2
	v_mov_b32_e32 v55, v178                                    // 000000008BDC: 7E6E03B2
	s_branch label_13AF                                        // 000000008BE0: BF82001B

0000000000008be4 <label_1394>:
	v_cndmask_b32_e64 v56, v56, v178, s[60:61]                 // 000000008BE4: D1000038 00F36538
	s_lshl_b32 s60, s60, 1                                     // 000000008BEC: 8E3C813C
	s_lshl_b32 s61, s61, 1                                     // 000000008BF0: 8E3D813D
	s_and_b32 s60, 0xfffeffff, s60                             // 000000008BF4: 863C3CFF FFFEFFFF
	s_and_b32 s61, 0xfffeffff, s61                             // 000000008BFC: 863D3DFF FFFEFFFF
	v_cndmask_b32_e64 v57, v57, v178, s[60:61]                 // 000000008C04: D1000039 00F36539
	s_lshl_b32 s60, s60, 1                                     // 000000008C0C: 8E3C813C
	s_lshl_b32 s61, s61, 1                                     // 000000008C10: 8E3D813D
	s_and_b32 s60, 0xfffeffff, s60                             // 000000008C14: 863C3CFF FFFEFFFF
	s_and_b32 s61, 0xfffeffff, s61                             // 000000008C1C: 863D3DFF FFFEFFFF
	v_cndmask_b32_e64 v58, v58, v178, s[60:61]                 // 000000008C24: D100003A 00F3653A
	s_lshl_b32 s60, s60, 1                                     // 000000008C2C: 8E3C813C
	s_lshl_b32 s61, s61, 1                                     // 000000008C30: 8E3D813D
	s_and_b32 s60, 0xfffeffff, s60                             // 000000008C34: 863C3CFF FFFEFFFF
	s_and_b32 s61, 0xfffeffff, s61                             // 000000008C3C: 863D3DFF FFFEFFFF
	v_cndmask_b32_e64 v59, v59, v178, s[60:61]                 // 000000008C44: D100003B 00F3653B
	s_branch label_13CF                                        // 000000008C4C: BF820020

0000000000008c50 <label_13AF>:
	v_mov_b32_e32 v56, v178                                    // 000000008C50: 7E7003B2
	v_mov_b32_e32 v57, v178                                    // 000000008C54: 7E7203B2
	v_mov_b32_e32 v58, v178                                    // 000000008C58: 7E7403B2
	v_mov_b32_e32 v59, v178                                    // 000000008C5C: 7E7603B2
	s_branch label_13CF                                        // 000000008C60: BF82001B

0000000000008c64 <label_13B4>:
	v_cndmask_b32_e64 v60, v60, v178, s[60:61]                 // 000000008C64: D100003C 00F3653C
	s_lshl_b32 s60, s60, 1                                     // 000000008C6C: 8E3C813C
	s_lshl_b32 s61, s61, 1                                     // 000000008C70: 8E3D813D
	s_and_b32 s60, 0xfffeffff, s60                             // 000000008C74: 863C3CFF FFFEFFFF
	s_and_b32 s61, 0xfffeffff, s61                             // 000000008C7C: 863D3DFF FFFEFFFF
	v_cndmask_b32_e64 v61, v61, v178, s[60:61]                 // 000000008C84: D100003D 00F3653D
	s_lshl_b32 s60, s60, 1                                     // 000000008C8C: 8E3C813C
	s_lshl_b32 s61, s61, 1                                     // 000000008C90: 8E3D813D
	s_and_b32 s60, 0xfffeffff, s60                             // 000000008C94: 863C3CFF FFFEFFFF
	s_and_b32 s61, 0xfffeffff, s61                             // 000000008C9C: 863D3DFF FFFEFFFF
	v_cndmask_b32_e64 v62, v62, v178, s[60:61]                 // 000000008CA4: D100003E 00F3653E
	s_lshl_b32 s60, s60, 1                                     // 000000008CAC: 8E3C813C
	s_lshl_b32 s61, s61, 1                                     // 000000008CB0: 8E3D813D
	s_and_b32 s60, 0xfffeffff, s60                             // 000000008CB4: 863C3CFF FFFEFFFF
	s_and_b32 s61, 0xfffeffff, s61                             // 000000008CBC: 863D3DFF FFFEFFFF
	v_cndmask_b32_e64 v63, v63, v178, s[60:61]                 // 000000008CC4: D100003F 00F3653F
	s_branch label_13D4                                        // 000000008CCC: BF820005

0000000000008cd0 <label_13CF>:
	v_mov_b32_e32 v60, v178                                    // 000000008CD0: 7E7803B2
	v_mov_b32_e32 v61, v178                                    // 000000008CD4: 7E7A03B2
	v_mov_b32_e32 v62, v178                                    // 000000008CD8: 7E7C03B2
	v_mov_b32_e32 v63, v178                                    // 000000008CDC: 7E7E03B2
	s_branch label_13D4                                        // 000000008CE0: BF820000

0000000000008ce4 <label_13D4>:
	s_addk_i32 s74, 0x1                                        // 000000008CE4: B74A0001
	s_add_u32 s62, 0, s46                                      // 000000008CE8: 803E2E80
	s_cmp_lt_i32 s74, s62                                      // 000000008CEC: BF043E4A
	s_cbranch_scc1 label_1400                                  // 000000008CF0: BF850028
	s_cmp_eq_i32 s74, s62                                      // 000000008CF4: BF003E4A
	s_cbranch_scc1 label_13E5                                  // 000000008CF8: BF85000B
	s_add_u32 s62, 4, s46                                      // 000000008CFC: 803E2E84
	s_cmp_lt_i32 s74, s62                                      // 000000008D00: BF043E4A
	s_cbranch_scc1 label_1420                                  // 000000008D04: BF850043
	s_cmp_eq_i32 s74, s62                                      // 000000008D08: BF003E4A
	s_cbranch_scc1 label_1405                                  // 000000008D0C: BF850026
	s_add_u32 s62, 8, s46                                      // 000000008D10: 803E2E88
	s_cmp_lt_i32 s74, s62                                      // 000000008D14: BF043E4A
	s_cbranch_scc1 label_1440                                  // 000000008D18: BF85005E
	s_cmp_eq_i32 s74, s62                                      // 000000008D1C: BF003E4A
	s_cbranch_scc1 label_1425                                  // 000000008D20: BF850041
	s_branch label_1445                                        // 000000008D24: BF820060

0000000000008d28 <label_13E5>:
	v_cndmask_b32_e64 v64, v64, v178, s[60:61]                 // 000000008D28: D1000040 00F36540
	s_lshl_b32 s60, s60, 1                                     // 000000008D30: 8E3C813C
	s_lshl_b32 s61, s61, 1                                     // 000000008D34: 8E3D813D
	s_and_b32 s60, 0xfffeffff, s60                             // 000000008D38: 863C3CFF FFFEFFFF
	s_and_b32 s61, 0xfffeffff, s61                             // 000000008D40: 863D3DFF FFFEFFFF
	v_cndmask_b32_e64 v65, v65, v178, s[60:61]                 // 000000008D48: D1000041 00F36541
	s_lshl_b32 s60, s60, 1                                     // 000000008D50: 8E3C813C
	s_lshl_b32 s61, s61, 1                                     // 000000008D54: 8E3D813D
	s_and_b32 s60, 0xfffeffff, s60                             // 000000008D58: 863C3CFF FFFEFFFF
	s_and_b32 s61, 0xfffeffff, s61                             // 000000008D60: 863D3DFF FFFEFFFF
	v_cndmask_b32_e64 v66, v66, v178, s[60:61]                 // 000000008D68: D1000042 00F36542
	s_lshl_b32 s60, s60, 1                                     // 000000008D70: 8E3C813C
	s_lshl_b32 s61, s61, 1                                     // 000000008D74: 8E3D813D
	s_and_b32 s60, 0xfffeffff, s60                             // 000000008D78: 863C3CFF FFFEFFFF
	s_and_b32 s61, 0xfffeffff, s61                             // 000000008D80: 863D3DFF FFFEFFFF
	v_cndmask_b32_e64 v67, v67, v178, s[60:61]                 // 000000008D88: D1000043 00F36543
	s_branch label_1420                                        // 000000008D90: BF820020

0000000000008d94 <label_1400>:
	v_mov_b32_e32 v64, v178                                    // 000000008D94: 7E8003B2
	v_mov_b32_e32 v65, v178                                    // 000000008D98: 7E8203B2
	v_mov_b32_e32 v66, v178                                    // 000000008D9C: 7E8403B2
	v_mov_b32_e32 v67, v178                                    // 000000008DA0: 7E8603B2
	s_branch label_1420                                        // 000000008DA4: BF82001B

0000000000008da8 <label_1405>:
	v_cndmask_b32_e64 v68, v68, v178, s[60:61]                 // 000000008DA8: D1000044 00F36544
	s_lshl_b32 s60, s60, 1                                     // 000000008DB0: 8E3C813C
	s_lshl_b32 s61, s61, 1                                     // 000000008DB4: 8E3D813D
	s_and_b32 s60, 0xfffeffff, s60                             // 000000008DB8: 863C3CFF FFFEFFFF
	s_and_b32 s61, 0xfffeffff, s61                             // 000000008DC0: 863D3DFF FFFEFFFF
	v_cndmask_b32_e64 v69, v69, v178, s[60:61]                 // 000000008DC8: D1000045 00F36545
	s_lshl_b32 s60, s60, 1                                     // 000000008DD0: 8E3C813C
	s_lshl_b32 s61, s61, 1                                     // 000000008DD4: 8E3D813D
	s_and_b32 s60, 0xfffeffff, s60                             // 000000008DD8: 863C3CFF FFFEFFFF
	s_and_b32 s61, 0xfffeffff, s61                             // 000000008DE0: 863D3DFF FFFEFFFF
	v_cndmask_b32_e64 v70, v70, v178, s[60:61]                 // 000000008DE8: D1000046 00F36546
	s_lshl_b32 s60, s60, 1                                     // 000000008DF0: 8E3C813C
	s_lshl_b32 s61, s61, 1                                     // 000000008DF4: 8E3D813D
	s_and_b32 s60, 0xfffeffff, s60                             // 000000008DF8: 863C3CFF FFFEFFFF
	s_and_b32 s61, 0xfffeffff, s61                             // 000000008E00: 863D3DFF FFFEFFFF
	v_cndmask_b32_e64 v71, v71, v178, s[60:61]                 // 000000008E08: D1000047 00F36547
	s_branch label_1440                                        // 000000008E10: BF820020

0000000000008e14 <label_1420>:
	v_mov_b32_e32 v68, v178                                    // 000000008E14: 7E8803B2
	v_mov_b32_e32 v69, v178                                    // 000000008E18: 7E8A03B2
	v_mov_b32_e32 v70, v178                                    // 000000008E1C: 7E8C03B2
	v_mov_b32_e32 v71, v178                                    // 000000008E20: 7E8E03B2
	s_branch label_1440                                        // 000000008E24: BF82001B

0000000000008e28 <label_1425>:
	v_cndmask_b32_e64 v72, v72, v178, s[60:61]                 // 000000008E28: D1000048 00F36548
	s_lshl_b32 s60, s60, 1                                     // 000000008E30: 8E3C813C
	s_lshl_b32 s61, s61, 1                                     // 000000008E34: 8E3D813D
	s_and_b32 s60, 0xfffeffff, s60                             // 000000008E38: 863C3CFF FFFEFFFF
	s_and_b32 s61, 0xfffeffff, s61                             // 000000008E40: 863D3DFF FFFEFFFF
	v_cndmask_b32_e64 v73, v73, v178, s[60:61]                 // 000000008E48: D1000049 00F36549
	s_lshl_b32 s60, s60, 1                                     // 000000008E50: 8E3C813C
	s_lshl_b32 s61, s61, 1                                     // 000000008E54: 8E3D813D
	s_and_b32 s60, 0xfffeffff, s60                             // 000000008E58: 863C3CFF FFFEFFFF
	s_and_b32 s61, 0xfffeffff, s61                             // 000000008E60: 863D3DFF FFFEFFFF
	v_cndmask_b32_e64 v74, v74, v178, s[60:61]                 // 000000008E68: D100004A 00F3654A
	s_lshl_b32 s60, s60, 1                                     // 000000008E70: 8E3C813C
	s_lshl_b32 s61, s61, 1                                     // 000000008E74: 8E3D813D
	s_and_b32 s60, 0xfffeffff, s60                             // 000000008E78: 863C3CFF FFFEFFFF
	s_and_b32 s61, 0xfffeffff, s61                             // 000000008E80: 863D3DFF FFFEFFFF
	v_cndmask_b32_e64 v75, v75, v178, s[60:61]                 // 000000008E88: D100004B 00F3654B
	s_branch label_1445                                        // 000000008E90: BF820005

0000000000008e94 <label_1440>:
	v_mov_b32_e32 v72, v178                                    // 000000008E94: 7E9003B2
	v_mov_b32_e32 v73, v178                                    // 000000008E98: 7E9203B2
	v_mov_b32_e32 v74, v178                                    // 000000008E9C: 7E9403B2
	v_mov_b32_e32 v75, v178                                    // 000000008EA0: 7E9603B2
	s_branch label_1445                                        // 000000008EA4: BF820000

0000000000008ea8 <label_1445>:
	s_cmp_lt_i32 s84, 0xc0                                     // 000000008EA8: BF04FF54 000000C0
	s_cbranch_scc0 label_14BE                                  // 000000008EB0: BF84006D
	s_cmp_le_i32 s84, 64                                       // 000000008EB4: BF05C054
	s_cbranch_scc1 label_1451                                  // 000000008EB8: BF850007
	s_cmp_le_i32 s84, 0x80                                     // 000000008EBC: BF05FF54 00000080
	s_cbranch_scc1 label_1475                                  // 000000008EC4: BF85001F
	s_cmp_lt_i32 s84, 0xc0                                     // 000000008EC8: BF04FF54 000000C0
	s_cbranch_scc1 label_1499                                  // 000000008ED0: BF850040
	s_branch label_14BE                                        // 000000008ED4: BF820064

0000000000008ed8 <label_1451>:
	s_mov_b32 s60, 0                                           // 000000008ED8: BEBC0080
	v_and_b32_e32 v32, 15, v0                                  // 000000008EDC: 2640008F
	v_add_u32_e64 v32, v32, s60                                // 000000008EE0: D1340020 00007920
	v_mul_i32_i24_e64 v33, s46, 16                             // 000000008EE8: D1060021 0001202E
	v_add_u32_e32 v32, v32, v33                                // 000000008EF0: 68404320
	v_cmp_lt_u32_e64 s[60:61], v32, s84                        // 000000008EF4: D0C9003C 0000A920
	s_nop 1                                                    // 000000008EFC: BF800001
	v_cndmask_b32_e64 v52, v178, v52, s[60:61]                 // 000000008F00: D1000034 00F269B2
	v_cndmask_b32_e64 v64, v178, v64, s[60:61]                 // 000000008F08: D1000040 00F281B2
	v_cndmask_b32_e64 v53, v178, v53, s[60:61]                 // 000000008F10: D1000035 00F26BB2
	v_cndmask_b32_e64 v65, v178, v65, s[60:61]                 // 000000008F18: D1000041 00F283B2
	v_cndmask_b32_e64 v54, v178, v54, s[60:61]                 // 000000008F20: D1000036 00F26DB2
	v_cndmask_b32_e64 v66, v178, v66, s[60:61]                 // 000000008F28: D1000042 00F285B2
	v_cndmask_b32_e64 v55, v178, v55, s[60:61]                 // 000000008F30: D1000037 00F26FB2
	v_cndmask_b32_e64 v67, v178, v67, s[60:61]                 // 000000008F38: D1000043 00F287B2
	s_branch label_1490                                        // 000000008F40: BF82001B

0000000000008f44 <label_1475>:
	s_mov_b32 s60, 64                                          // 000000008F44: BEBC00C0
	v_and_b32_e32 v32, 15, v0                                  // 000000008F48: 2640008F
	v_add_u32_e64 v32, v32, s60                                // 000000008F4C: D1340020 00007920
	v_mul_i32_i24_e64 v33, s46, 16                             // 000000008F54: D1060021 0001202E
	v_add_u32_e32 v32, v32, v33                                // 000000008F5C: 68404320
	v_cmp_lt_u32_e64 s[60:61], v32, s84                        // 000000008F60: D0C9003C 0000A920
	s_nop 1                                                    // 000000008F68: BF800001
	v_cndmask_b32_e64 v56, v178, v56, s[60:61]                 // 000000008F6C: D1000038 00F271B2
	v_cndmask_b32_e64 v68, v178, v68, s[60:61]                 // 000000008F74: D1000044 00F289B2
	v_cndmask_b32_e64 v57, v178, v57, s[60:61]                 // 000000008F7C: D1000039 00F273B2
	v_cndmask_b32_e64 v69, v178, v69, s[60:61]                 // 000000008F84: D1000045 00F28BB2
	v_cndmask_b32_e64 v58, v178, v58, s[60:61]                 // 000000008F8C: D100003A 00F275B2
	v_cndmask_b32_e64 v70, v178, v70, s[60:61]                 // 000000008F94: D1000046 00F28DB2
	v_cndmask_b32_e64 v59, v178, v59, s[60:61]                 // 000000008F9C: D100003B 00F277B2
	v_cndmask_b32_e64 v71, v178, v71, s[60:61]                 // 000000008FA4: D1000047 00F28FB2
	s_branch label_14B5                                        // 000000008FAC: BF820025

0000000000008fb0 <label_1490>:
	v_mov_b32_e32 v56, v178                                    // 000000008FB0: 7E7003B2
	v_mov_b32_e32 v68, v178                                    // 000000008FB4: 7E8803B2
	v_mov_b32_e32 v57, v178                                    // 000000008FB8: 7E7203B2
	v_mov_b32_e32 v69, v178                                    // 000000008FBC: 7E8A03B2
	v_mov_b32_e32 v58, v178                                    // 000000008FC0: 7E7403B2
	v_mov_b32_e32 v70, v178                                    // 000000008FC4: 7E8C03B2
	v_mov_b32_e32 v59, v178                                    // 000000008FC8: 7E7603B2
	v_mov_b32_e32 v71, v178                                    // 000000008FCC: 7E8E03B2
	s_branch label_14B5                                        // 000000008FD0: BF82001C

0000000000008fd4 <label_1499>:
	s_mov_b32 s60, 0x80                                        // 000000008FD4: BEBC00FF 00000080
	v_and_b32_e32 v32, 15, v0                                  // 000000008FDC: 2640008F
	v_add_u32_e64 v32, v32, s60                                // 000000008FE0: D1340020 00007920
	v_mul_i32_i24_e64 v33, s46, 16                             // 000000008FE8: D1060021 0001202E
	v_add_u32_e32 v32, v32, v33                                // 000000008FF0: 68404320
	v_cmp_lt_u32_e64 s[60:61], v32, s84                        // 000000008FF4: D0C9003C 0000A920
	s_nop 1                                                    // 000000008FFC: BF800001
	v_cndmask_b32_e64 v60, v178, v60, s[60:61]                 // 000000009000: D100003C 00F279B2
	v_cndmask_b32_e64 v72, v178, v72, s[60:61]                 // 000000009008: D1000048 00F291B2
	v_cndmask_b32_e64 v61, v178, v61, s[60:61]                 // 000000009010: D100003D 00F27BB2
	v_cndmask_b32_e64 v73, v178, v73, s[60:61]                 // 000000009018: D1000049 00F293B2
	v_cndmask_b32_e64 v62, v178, v62, s[60:61]                 // 000000009020: D100003E 00F27DB2
	v_cndmask_b32_e64 v74, v178, v74, s[60:61]                 // 000000009028: D100004A 00F295B2
	v_cndmask_b32_e64 v63, v178, v63, s[60:61]                 // 000000009030: D100003F 00F27FB2
	v_cndmask_b32_e64 v75, v178, v75, s[60:61]                 // 000000009038: D100004B 00F297B2
	s_branch label_14BE                                        // 000000009040: BF820009

0000000000009044 <label_14B5>:
	v_mov_b32_e32 v60, v178                                    // 000000009044: 7E7803B2
	v_mov_b32_e32 v72, v178                                    // 000000009048: 7E9003B2
	v_mov_b32_e32 v61, v178                                    // 00000000904C: 7E7A03B2
	v_mov_b32_e32 v73, v178                                    // 000000009050: 7E9203B2
	v_mov_b32_e32 v62, v178                                    // 000000009054: 7E7C03B2
	v_mov_b32_e32 v74, v178                                    // 000000009058: 7E9403B2
	v_mov_b32_e32 v63, v178                                    // 00000000905C: 7E7E03B2
	v_mov_b32_e32 v75, v178                                    // 000000009060: 7E9603B2
	s_branch label_14BE                                        // 000000009064: BF820000

0000000000009068 <label_14BE>:
	s_addk_i32 s74, 0x1                                        // 000000009068: B74A0001
	s_waitcnt lgkmcnt(8)                                       // 00000000906C: BF8CC87F
	s_barrier                                                  // 000000009070: BF8A0000
	v_mfma_f32_16x16x16_bf16 v[76:79], v[108:109], a[72:73], 0 // 000000009074: D3E1004C 1202916C
	v_fma_f32 v52, v52, s57, -v140                             // 00000000907C: D1CB0034 86307334
	v_fma_f32 v53, v53, s57, -v141                             // 000000009084: D1CB0035 86347335
	v_fma_f32 v54, v54, s57, -v142                             // 00000000908C: D1CB0036 86387336
	v_fma_f32 v55, v55, s57, -v143                             // 000000009094: D1CB0037 863C7337
	v_fma_f32 v56, v56, s57, -v140                             // 00000000909C: D1CB0038 86307338
	v_fma_f32 v57, v57, s57, -v141                             // 0000000090A4: D1CB0039 86347339
	v_mfma_f32_16x16x16_bf16 v[76:79], v[110:111], a[74:75], v[76:79]// 0000000090AC: D3E1004C 1532956E
	ds_read_b128 a[96:99], v14 offset:4352                     // 0000000090B4: DBFE1100 6000000E
	ds_read_b128 a[100:103], v14 offset:4864                   // 0000000090BC: DBFE1300 6400000E
	v_mfma_f32_16x16x16_bf16 v[76:79], v[112:113], a[76:77], v[76:79]// 0000000090C4: D3E1004C 15329970
	v_fma_f32 v58, v58, s57, -v142                             // 0000000090CC: D1CB003A 8638733A
	v_fma_f32 v59, v59, s57, -v143                             // 0000000090D4: D1CB003B 863C733B
	v_fma_f32 v60, v60, s57, -v140                             // 0000000090DC: D1CB003C 8630733C
	v_fma_f32 v61, v61, s57, -v141                             // 0000000090E4: D1CB003D 8634733D
	v_fma_f32 v62, v62, s57, -v142                             // 0000000090EC: D1CB003E 8638733E
	v_fma_f32 v63, v63, s57, -v143                             // 0000000090F4: D1CB003F 863C733F
	v_mfma_f32_16x16x16_bf16 v[76:79], v[114:115], a[78:79], v[76:79]// 0000000090FC: D3E1004C 15329D72
	v_fma_f32 v64, v64, s57, -v144                             // 000000009104: D1CB0040 86407340
	v_fma_f32 v65, v65, s57, -v145                             // 00000000910C: D1CB0041 86447341
	v_fma_f32 v66, v66, s57, -v146                             // 000000009114: D1CB0042 86487342
	v_fma_f32 v67, v67, s57, -v147                             // 00000000911C: D1CB0043 864C7343
	v_fma_f32 v68, v68, s57, -v144                             // 000000009124: D1CB0044 86407344
	v_fma_f32 v69, v69, s57, -v145                             // 00000000912C: D1CB0045 86447345
	v_mfma_f32_16x16x16_bf16 v[80:83], v[108:109], a[80:81], 0 // 000000009134: D3E10050 1202A16C
	v_fma_f32 v70, v70, s57, -v146                             // 00000000913C: D1CB0046 86487346
	v_fma_f32 v71, v71, s57, -v147                             // 000000009144: D1CB0047 864C7347
	v_fma_f32 v72, v72, s57, -v144                             // 00000000914C: D1CB0048 86407348
	v_fma_f32 v73, v73, s57, -v145                             // 000000009154: D1CB0049 86447349
	v_fma_f32 v74, v74, s57, -v146                             // 00000000915C: D1CB004A 8648734A
	v_fma_f32 v75, v75, s57, -v147                             // 000000009164: D1CB004B 864C734B
	v_mfma_f32_16x16x16_bf16 v[80:83], v[110:111], a[82:83], v[80:83]// 00000000916C: D3E10050 1542A56E
	ds_read_b128 a[104:107], v14 offset:6528                   // 000000009174: DBFE1980 6800000E
	ds_read_b128 a[108:111], v14 offset:7040                   // 00000000917C: DBFE1B80 6C00000E
	v_mfma_f32_16x16x16_bf16 v[80:83], v[112:113], a[84:85], v[80:83]// 000000009184: D3E10050 1542A970
	v_exp_f32_e32 v52, v52                                     // 00000000918C: 7E684134
	v_exp_f32_e32 v53, v53                                     // 000000009190: 7E6A4135
	v_mfma_f32_16x16x16_bf16 v[80:83], v[114:115], a[86:87], v[80:83]// 000000009194: D3E10050 1542AD72
	v_exp_f32_e32 v54, v54                                     // 00000000919C: 7E6C4136
	v_exp_f32_e32 v55, v55                                     // 0000000091A0: 7E6E4137
	v_mfma_f32_16x16x16_bf16 v[84:87], v[108:109], a[88:89], 0 // 0000000091A4: D3E10054 1202B16C
	v_exp_f32_e32 v56, v56                                     // 0000000091AC: 7E704138
	v_exp_f32_e32 v57, v57                                     // 0000000091B0: 7E724139
	v_mfma_f32_16x16x16_bf16 v[84:87], v[110:111], a[90:91], v[84:87]// 0000000091B4: D3E10054 1552B56E
	ds_read_b64 v[156:157], v21 offset:31232                   // 0000000091BC: D8EC7A00 9C000015
	ds_read_b64 v[158:159], v21 offset:33280                   // 0000000091C4: D8EC8200 9E000015
	v_mfma_f32_16x16x16_bf16 v[84:87], v[112:113], a[92:93], v[84:87]// 0000000091CC: D3E10054 1552B970
	v_exp_f32_e32 v58, v58                                     // 0000000091D4: 7E74413A
	v_exp_f32_e32 v59, v59                                     // 0000000091D8: 7E76413B
	v_mfma_f32_16x16x16_bf16 v[84:87], v[114:115], a[94:95], v[84:87]// 0000000091DC: D3E10054 1552BD72
	ds_read_b64 v[160:161], v21 offset:35328                   // 0000000091E4: D8EC8A00 A0000015
	ds_read_b64 v[162:163], v21 offset:37376                   // 0000000091EC: D8EC9200 A2000015
	v_mfma_f32_16x16x16_bf16 v[88:91], v[116:117], a[72:73], 0 // 0000000091F4: D3E10058 12029174
	v_exp_f32_e32 v60, v60                                     // 0000000091FC: 7E78413C
	v_exp_f32_e32 v61, v61                                     // 000000009200: 7E7A413D
	v_mfma_f32_16x16x16_bf16 v[88:91], v[118:119], a[74:75], v[88:91]// 000000009204: D3E10058 15629576
	v_exp_f32_e32 v62, v62                                     // 00000000920C: 7E7C413E
	v_exp_f32_e32 v63, v63                                     // 000000009210: 7E7E413F
	v_mfma_f32_16x16x16_bf16 v[88:91], v[120:121], a[76:77], v[88:91]// 000000009214: D3E10058 15629978
	v_exp_f32_e32 v64, v64                                     // 00000000921C: 7E804140
	v_exp_f32_e32 v65, v65                                     // 000000009220: 7E824141
	v_mfma_f32_16x16x16_bf16 v[88:91], v[122:123], a[78:79], v[88:91]// 000000009224: D3E10058 15629D7A
	v_exp_f32_e32 v66, v66                                     // 00000000922C: 7E844142
	v_exp_f32_e32 v67, v67                                     // 000000009230: 7E864143
	v_mfma_f32_16x16x16_bf16 v[92:95], v[116:117], a[80:81], 0 // 000000009234: D3E1005C 1202A174
	v_exp_f32_e32 v68, v68                                     // 00000000923C: 7E884144
	v_exp_f32_e32 v69, v69                                     // 000000009240: 7E8A4145
	v_mfma_f32_16x16x16_bf16 v[92:95], v[118:119], a[82:83], v[92:95]// 000000009244: D3E1005C 1572A576
	v_exp_f32_e32 v70, v70                                     // 00000000924C: 7E8C4146
	v_exp_f32_e32 v71, v71                                     // 000000009250: 7E8E4147
	v_mfma_f32_16x16x16_bf16 v[92:95], v[120:121], a[84:85], v[92:95]// 000000009254: D3E1005C 1572A978
	v_exp_f32_e32 v72, v72                                     // 00000000925C: 7E904148
	v_exp_f32_e32 v73, v73                                     // 000000009260: 7E924149
	v_mfma_f32_16x16x16_bf16 v[92:95], v[122:123], a[86:87], v[92:95]// 000000009264: D3E1005C 1572AD7A
	v_exp_f32_e32 v74, v74                                     // 00000000926C: 7E94414A
	v_exp_f32_e32 v75, v75                                     // 000000009270: 7E96414B
	v_mfma_f32_16x16x16_bf16 v[96:99], v[116:117], a[88:89], 0 // 000000009274: D3E10060 1202B174
	v_perm_b32 v164, v53, v52, s64                             // 00000000927C: D1ED00A4 01026935
	v_perm_b32 v165, v55, v54, s64                             // 000000009284: D1ED00A5 01026D37
	v_perm_b32 v166, v57, v56, s64                             // 00000000928C: D1ED00A6 01027139
	v_perm_b32 v167, v59, v58, s64                             // 000000009294: D1ED00A7 0102753B
	v_perm_b32 v168, v61, v60, s64                             // 00000000929C: D1ED00A8 0102793D
	v_perm_b32 v169, v63, v62, s64                             // 0000000092A4: D1ED00A9 01027D3F
	v_mfma_f32_16x16x16_bf16 v[96:99], v[118:119], a[90:91], v[96:99]// 0000000092AC: D3E10060 1582B576
	v_perm_b32 v170, v65, v64, s64                             // 0000000092B4: D1ED00AA 01028141
	v_perm_b32 v171, v67, v66, s64                             // 0000000092BC: D1ED00AB 01028543
	v_perm_b32 v172, v69, v68, s64                             // 0000000092C4: D1ED00AC 01028945
	v_perm_b32 v173, v71, v70, s64                             // 0000000092CC: D1ED00AD 01028D47
	v_perm_b32 v174, v73, v72, s64                             // 0000000092D4: D1ED00AE 01029149
	v_perm_b32 v175, v75, v74, s64                             // 0000000092DC: D1ED00AF 0102954B
	v_mfma_f32_16x16x16_bf16 v[96:99], v[120:121], a[92:93], v[96:99]// 0000000092E4: D3E10060 1582B978
	v_add_u32_e32 v6, s66, v6                                  // 0000000092EC: 680C0C42
	v_add_u32_e32 v7, s66, v7                                  // 0000000092F0: 680E0E42
	v_add_u32_e32 v8, s66, v8                                  // 0000000092F4: 68101042
	v_add_u32_e32 v9, s66, v9                                  // 0000000092F8: 68121242
	v_mfma_f32_16x16x16_bf16 v[96:99], v[122:123], a[94:95], v[96:99]// 0000000092FC: D3E10060 1582BD7A
	s_waitcnt lgkmcnt(0)                                       // 000000009304: BF8CC07F
	s_barrier                                                  // 000000009308: BF8A0000
	v_mfma_f32_16x16x16_bf16 v[180:183], v[124:125], v[164:165], v[180:183]// 00000000930C: D3E100B4 06D3497C
	v_subrev_f32_dpp v76, v176, v76 quad_perm:[0,0,0,0] row_mask:0xf bank_mask:0xf// 000000009314: 069898FA FF0000B0
	v_subrev_f32_dpp v77, v176, v77 quad_perm:[1,1,1,1] row_mask:0xf bank_mask:0xf// 00000000931C: 069A9AFA FF0055B0
	v_subrev_f32_dpp v78, v176, v78 quad_perm:[2,2,2,2] row_mask:0xf bank_mask:0xf// 000000009324: 069C9CFA FF00AAB0
	v_subrev_f32_dpp v79, v176, v79 quad_perm:[3,3,3,3] row_mask:0xf bank_mask:0xf// 00000000932C: 069E9EFA FF00FFB0
	v_subrev_f32_dpp v80, v176, v80 quad_perm:[0,0,0,0] row_mask:0xf bank_mask:0xf// 000000009334: 06A0A0FA FF0000B0
	v_subrev_f32_dpp v81, v176, v81 quad_perm:[1,1,1,1] row_mask:0xf bank_mask:0xf// 00000000933C: 06A2A2FA FF0055B0
	v_mfma_f32_16x16x16_bf16 v[184:187], v[126:127], v[164:165], v[184:187]// 000000009344: D3E100B8 06E3497E
	v_subrev_f32_dpp v82, v176, v82 quad_perm:[2,2,2,2] row_mask:0xf bank_mask:0xf// 00000000934C: 06A4A4FA FF00AAB0
	v_subrev_f32_dpp v83, v176, v83 quad_perm:[3,3,3,3] row_mask:0xf bank_mask:0xf// 000000009354: 06A6A6FA FF00FFB0
	v_subrev_f32_dpp v84, v176, v84 quad_perm:[0,0,0,0] row_mask:0xf bank_mask:0xf// 00000000935C: 06A8A8FA FF0000B0
	v_subrev_f32_dpp v85, v176, v85 quad_perm:[1,1,1,1] row_mask:0xf bank_mask:0xf// 000000009364: 06AAAAFA FF0055B0
	v_subrev_f32_dpp v86, v176, v86 quad_perm:[2,2,2,2] row_mask:0xf bank_mask:0xf// 00000000936C: 06ACACFA FF00AAB0
	v_subrev_f32_dpp v87, v176, v87 quad_perm:[3,3,3,3] row_mask:0xf bank_mask:0xf// 000000009374: 06AEAEFA FF00FFB0
	v_mfma_f32_16x16x16_bf16 v[188:191], v[128:129], v[164:165], v[188:191]// 00000000937C: D3E100BC 06F34980
	v_mul_f32_e32 v76, v52, v76                                // 000000009384: 0A989934
	v_mul_f32_e32 v77, v53, v77                                // 000000009388: 0A9A9B35
	v_mul_f32_e32 v78, v54, v78                                // 00000000938C: 0A9C9D36
	v_mul_f32_e32 v79, v55, v79                                // 000000009390: 0A9E9F37
	v_mul_f32_e32 v80, v56, v80                                // 000000009394: 0AA0A138
	v_mul_f32_e32 v81, v57, v81                                // 000000009398: 0AA2A339
	v_mfma_f32_16x16x16_bf16 v[192:195], v[130:131], v[164:165], v[192:195]// 00000000939C: D3E100C0 07034982
	v_mul_f32_e32 v82, v58, v82                                // 0000000093A4: 0AA4A53A
	v_mul_f32_e32 v83, v59, v83                                // 0000000093A8: 0AA6A73B
	v_mul_f32_e32 v84, v60, v84                                // 0000000093AC: 0AA8A93C
	v_mul_f32_e32 v85, v61, v85                                // 0000000093B0: 0AAAAB3D
	v_mul_f32_e32 v86, v62, v86                                // 0000000093B4: 0AACAD3E
	v_mul_f32_e32 v87, v63, v87                                // 0000000093B8: 0AAEAF3F
	v_mfma_f32_16x16x16_bf16 v[196:199], v[124:125], v[166:167], v[196:199]// 0000000093BC: D3E100C4 07134D7C
	v_perm_b32 v76, v77, v76, s64                              // 0000000093C4: D1ED004C 0102994D
	v_perm_b32 v77, v79, v78, s64                              // 0000000093CC: D1ED004D 01029D4F
	v_perm_b32 v78, v81, v80, s64                              // 0000000093D4: D1ED004E 0102A151
	v_perm_b32 v79, v83, v82, s64                              // 0000000093DC: D1ED004F 0102A553
	v_perm_b32 v80, v85, v84, s64                              // 0000000093E4: D1ED0050 0102A955
	v_perm_b32 v81, v87, v86, s64                              // 0000000093EC: D1ED0051 0102AD57
	v_mfma_f32_16x16x16_bf16 v[200:203], v[126:127], v[166:167], v[200:203]// 0000000093F4: D3E100C8 07234D7E
	v_mov_b32_dpp v18, v76 quad_perm:[1,0,3,2] row_mask:0xf bank_mask:0xf// 0000000093FC: 7E2402FA FF00B14C
	v_perm_b32 v52, v18, v76, v17                              // 000000009404: D1ED0034 04469912
	v_mov_b32_dpp v18, v77 quad_perm:[1,0,3,2] row_mask:0xf bank_mask:0xf// 00000000940C: 7E2402FA FF00B14D
	v_perm_b32 v53, v18, v77, v17                              // 000000009414: D1ED0035 04469B12
	v_mov_b32_dpp v18, v78 quad_perm:[1,0,3,2] row_mask:0xf bank_mask:0xf// 00000000941C: 7E2402FA FF00B14E
	v_perm_b32 v54, v18, v78, v17                              // 000000009424: D1ED0036 04469D12
	v_mfma_f32_16x16x16_bf16 v[204:207], v[128:129], v[166:167], v[204:207]// 00000000942C: D3E100CC 07334D80
	ds_write_b32 v20, v52 offset:17408                         // 000000009434: D81A4400 00003414
	ds_write_b32 v20, v53 offset:17952                         // 00000000943C: D81A4620 00003514
	v_mfma_f32_16x16x16_bf16 v[208:211], v[130:131], v[166:167], v[208:211]// 000000009444: D3E100D0 07434D82
	v_mov_b32_dpp v18, v79 quad_perm:[1,0,3,2] row_mask:0xf bank_mask:0xf// 00000000944C: 7E2402FA FF00B14F
	v_perm_b32 v55, v18, v79, v17                              // 000000009454: D1ED0037 04469F12
	v_mov_b32_dpp v18, v80 quad_perm:[1,0,3,2] row_mask:0xf bank_mask:0xf// 00000000945C: 7E2402FA FF00B150
	v_perm_b32 v56, v18, v80, v17                              // 000000009464: D1ED0038 0446A112
	v_mov_b32_dpp v18, v81 quad_perm:[1,0,3,2] row_mask:0xf bank_mask:0xf// 00000000946C: 7E2402FA FF00B151
	v_perm_b32 v57, v18, v81, v17                              // 000000009474: D1ED0039 0446A312
	v_mfma_f32_16x16x16_bf16 v[212:215], v[124:125], v[168:169], v[212:215]// 00000000947C: D3E100D4 0753517C
	ds_write_b32 v20, v54 offset:19712                         // 000000009484: D81A4D00 00003614
	ds_write_b32 v20, v55 offset:20256                         // 00000000948C: D81A4F20 00003714
	v_mfma_f32_16x16x16_bf16 v[216:219], v[126:127], v[168:169], v[216:219]// 000000009494: D3E100D8 0763517E
	v_subrev_f32_dpp v88, v177, v88 quad_perm:[0,0,0,0] row_mask:0xf bank_mask:0xf// 00000000949C: 06B0B0FA FF0000B1
	v_subrev_f32_dpp v89, v177, v89 quad_perm:[1,1,1,1] row_mask:0xf bank_mask:0xf// 0000000094A4: 06B2B2FA FF0055B1
	v_subrev_f32_dpp v90, v177, v90 quad_perm:[2,2,2,2] row_mask:0xf bank_mask:0xf// 0000000094AC: 06B4B4FA FF00AAB1
	v_subrev_f32_dpp v91, v177, v91 quad_perm:[3,3,3,3] row_mask:0xf bank_mask:0xf// 0000000094B4: 06B6B6FA FF00FFB1
	v_subrev_f32_dpp v92, v177, v92 quad_perm:[0,0,0,0] row_mask:0xf bank_mask:0xf// 0000000094BC: 06B8B8FA FF0000B1
	v_subrev_f32_dpp v93, v177, v93 quad_perm:[1,1,1,1] row_mask:0xf bank_mask:0xf// 0000000094C4: 06BABAFA FF0055B1
	v_mfma_f32_16x16x16_bf16 v[220:223], v[128:129], v[168:169], v[220:223]// 0000000094CC: D3E100DC 07735180
	ds_write_b32 v20, v56 offset:22016                         // 0000000094D4: D81A5600 00003814
	ds_write_b32 v20, v57 offset:22560                         // 0000000094DC: D81A5820 00003914
	v_mfma_f32_16x16x16_bf16 v[224:227], v[130:131], v[168:169], v[224:227]// 0000000094E4: D3E100E0 07835182
	v_subrev_f32_dpp v94, v177, v94 quad_perm:[2,2,2,2] row_mask:0xf bank_mask:0xf// 0000000094EC: 06BCBCFA FF00AAB1
	v_subrev_f32_dpp v95, v177, v95 quad_perm:[3,3,3,3] row_mask:0xf bank_mask:0xf// 0000000094F4: 06BEBEFA FF00FFB1
	v_subrev_f32_dpp v96, v177, v96 quad_perm:[0,0,0,0] row_mask:0xf bank_mask:0xf// 0000000094FC: 06C0C0FA FF0000B1
	v_subrev_f32_dpp v97, v177, v97 quad_perm:[1,1,1,1] row_mask:0xf bank_mask:0xf// 000000009504: 06C2C2FA FF0055B1
	v_subrev_f32_dpp v98, v177, v98 quad_perm:[2,2,2,2] row_mask:0xf bank_mask:0xf// 00000000950C: 06C4C4FA FF00AAB1
	v_subrev_f32_dpp v99, v177, v99 quad_perm:[3,3,3,3] row_mask:0xf bank_mask:0xf// 000000009514: 06C6C6FA FF00FFB1
	v_mfma_f32_16x16x16_bf16 v[180:183], v[132:133], v[170:171], v[180:183]// 00000000951C: D3E100B4 06D35584
	v_mul_f32_e32 v88, v64, v88                                // 000000009524: 0AB0B140
	v_mul_f32_e32 v89, v65, v89                                // 000000009528: 0AB2B341
	v_mul_f32_e32 v90, v66, v90                                // 00000000952C: 0AB4B542
	v_mul_f32_e32 v91, v67, v91                                // 000000009530: 0AB6B743
	v_mul_f32_e32 v92, v68, v92                                // 000000009534: 0AB8B944
	v_mul_f32_e32 v93, v69, v93                                // 000000009538: 0ABABB45
	v_mfma_f32_16x16x16_bf16 v[184:187], v[134:135], v[170:171], v[184:187]// 00000000953C: D3E100B8 06E35586
	v_mul_f32_e32 v94, v70, v94                                // 000000009544: 0ABCBD46
	v_mul_f32_e32 v95, v71, v95                                // 000000009548: 0ABEBF47
	v_mul_f32_e32 v96, v72, v96                                // 00000000954C: 0AC0C148
	v_mul_f32_e32 v97, v73, v97                                // 000000009550: 0AC2C349
	v_mul_f32_e32 v98, v74, v98                                // 000000009554: 0AC4C54A
	v_mul_f32_e32 v99, v75, v99                                // 000000009558: 0AC6C74B
	v_mfma_f32_16x16x16_bf16 v[188:191], v[136:137], v[170:171], v[188:191]// 00000000955C: D3E100BC 06F35588
	v_perm_b32 v82, v89, v88, s64                              // 000000009564: D1ED0052 0102B159
	v_perm_b32 v83, v91, v90, s64                              // 00000000956C: D1ED0053 0102B55B
	v_perm_b32 v84, v93, v92, s64                              // 000000009574: D1ED0054 0102B95D
	v_perm_b32 v85, v95, v94, s64                              // 00000000957C: D1ED0055 0102BD5F
	v_perm_b32 v86, v97, v96, s64                              // 000000009584: D1ED0056 0102C161
	v_perm_b32 v87, v99, v98, s64                              // 00000000958C: D1ED0057 0102C563
	v_mfma_f32_16x16x16_bf16 v[192:195], v[138:139], v[170:171], v[192:195]// 000000009594: D3E100C0 0703558A
	v_mov_b32_dpp v18, v82 quad_perm:[1,0,3,2] row_mask:0xf bank_mask:0xf// 00000000959C: 7E2402FA FF00B152
	v_perm_b32 v58, v18, v82, v17                              // 0000000095A4: D1ED003A 0446A512
	v_mov_b32_dpp v18, v83 quad_perm:[1,0,3,2] row_mask:0xf bank_mask:0xf// 0000000095AC: 7E2402FA FF00B153
	v_perm_b32 v59, v18, v83, v17                              // 0000000095B4: D1ED003B 0446A712
	v_mov_b32_dpp v18, v84 quad_perm:[1,0,3,2] row_mask:0xf bank_mask:0xf// 0000000095BC: 7E2402FA FF00B154
	v_perm_b32 v60, v18, v84, v17                              // 0000000095C4: D1ED003C 0446A912
	v_mfma_f32_16x16x16_bf16 v[196:199], v[132:133], v[172:173], v[196:199]// 0000000095CC: D3E100C4 07135984
	ds_write_b32 v20, v58 offset:24320                         // 0000000095D4: D81A5F00 00003A14
	ds_write_b32 v20, v59 offset:24864                         // 0000000095DC: D81A6120 00003B14
	v_mfma_f32_16x16x16_bf16 v[200:203], v[134:135], v[172:173], v[200:203]// 0000000095E4: D3E100C8 07235986
	v_mov_b32_dpp v18, v85 quad_perm:[1,0,3,2] row_mask:0xf bank_mask:0xf// 0000000095EC: 7E2402FA FF00B155
	v_perm_b32 v61, v18, v85, v17                              // 0000000095F4: D1ED003D 0446AB12
	v_mov_b32_dpp v18, v86 quad_perm:[1,0,3,2] row_mask:0xf bank_mask:0xf// 0000000095FC: 7E2402FA FF00B156
	v_perm_b32 v62, v18, v86, v17                              // 000000009604: D1ED003E 0446AD12
	v_mov_b32_dpp v18, v87 quad_perm:[1,0,3,2] row_mask:0xf bank_mask:0xf// 00000000960C: 7E2402FA FF00B157
	v_perm_b32 v63, v18, v87, v17                              // 000000009614: D1ED003F 0446AF12
	v_mfma_f32_16x16x16_bf16 v[204:207], v[136:137], v[172:173], v[204:207]// 00000000961C: D3E100CC 07335988
	ds_write_b32 v20, v60 offset:26624                         // 000000009624: D81A6800 00003C14
	ds_write_b32 v20, v61 offset:27168                         // 00000000962C: D81A6A20 00003D14
	ds_write_b32 v20, v62 offset:28928                         // 000000009634: D81A7100 00003E14
	ds_write_b32 v20, v63 offset:29472                         // 00000000963C: D81A7320 00003F14
	v_mfma_f32_16x16x16_bf16 v[208:211], v[138:139], v[172:173], v[208:211]// 000000009644: D3E100D0 0743598A
	v_mfma_f32_16x16x16_bf16 v[212:215], v[132:133], v[174:175], v[212:215]// 00000000964C: D3E100D4 07535D84
	ds_write_b32 v15, v100 offset:4352                         // 000000009654: D81A1100 0000640F
	ds_write_b32 v15, v101 offset:5408                         // 00000000965C: D81A1520 0000650F
	v_mfma_f32_16x16x16_bf16 v[216:219], v[134:135], v[174:175], v[216:219]// 000000009664: D3E100D8 07635D86
	v_mfma_f32_16x16x16_bf16 v[220:223], v[136:137], v[174:175], v[220:223]// 00000000966C: D3E100DC 07735D88
	ds_write_b32 v15, v102 offset:6528                         // 000000009674: D81A1980 0000660F
	ds_write_b32 v15, v103 offset:7584                         // 00000000967C: D81A1DA0 0000670F
	v_mfma_f32_16x16x16_bf16 v[224:227], v[138:139], v[174:175], v[224:227]// 000000009684: D3E100E0 07835D8A
	s_nop 0                                                    // 00000000968C: BF800000
	s_nop 0                                                    // 000000009690: BF800000
	s_nop 0                                                    // 000000009694: BF800000
	s_barrier                                                  // 000000009698: BF8A0000
	v_mfma_f32_16x16x16_bf16 a[112:115], a[96:97], v[76:77], a[112:115]// 00000000969C: D3E18070 0DC29960
	ds_read_b32 v140, v23 offset:39424                         // 0000000096A4: D86C9A00 8C000017
	ds_read_b32 v144, v23 offset:39488                         // 0000000096AC: D86C9A40 90000017
	ds_read_b32 v176, v23 offset:39680                         // 0000000096B4: D86C9B00 B0000017
	ds_read_b32 v177, v23 offset:39744                         // 0000000096BC: D86C9B40 B1000017
	v_mfma_f32_16x16x16_bf16 a[116:119], a[98:99], v[76:77], a[116:119]// 0000000096C4: D3E18074 0DD29962
	buffer_atomic_add_f32 v156, v6, s[32:35], 0 idxen          // 0000000096CC: E1342000 80089C06
	v_mfma_f32_16x16x16_bf16 a[120:123], a[100:101], v[76:77], a[120:123]// 0000000096D4: D3E18078 0DE29964
	s_waitcnt lgkmcnt(8)                                       // 0000000096DC: BF8CC87F
	s_barrier                                                  // 0000000096E0: BF8A0000
	v_mfma_f32_16x16x16_bf16 a[124:127], a[102:103], v[76:77], a[124:127]// 0000000096E4: D3E1807C 0DF29966
	v_mfma_f32_16x16x16_bf16 a[128:131], a[96:97], v[78:79], a[128:131]// 0000000096EC: D3E18080 0E029D60
	ds_read_b128 v[52:55], v19 offset:17408                    // 0000000096F4: D9FE4400 34000013
	v_mfma_f32_16x16x16_bf16 a[132:135], a[98:99], v[78:79], a[132:135]// 0000000096FC: D3E18084 0E129D62
	v_mfma_f32_16x16x16_bf16 a[136:139], a[100:101], v[78:79], a[136:139]// 000000009704: D3E18088 0E229D64
	ds_read_b128 v[56:59], v19 offset:18560                    // 00000000970C: D9FE4880 38000013
	v_mfma_f32_16x16x16_bf16 a[140:143], a[102:103], v[78:79], a[140:143]// 000000009714: D3E1808C 0E329D66
	buffer_atomic_add_f32 v157, v7, s[32:35], 0 idxen          // 00000000971C: E1342000 80089D07
	v_mfma_f32_16x16x16_bf16 a[144:147], a[96:97], v[80:81], a[144:147]// 000000009724: D3E18090 0E42A160
	ds_read_b128 v[60:63], v19 offset:19712                    // 00000000972C: D9FE4D00 3C000013
	v_mfma_f32_16x16x16_bf16 a[148:151], a[98:99], v[80:81], a[148:151]// 000000009734: D3E18094 0E52A162
	v_mfma_f32_16x16x16_bf16 a[152:155], a[100:101], v[80:81], a[152:155]// 00000000973C: D3E18098 0E62A164
	ds_read_b128 v[64:67], v19 offset:20864                    // 000000009744: D9FE5180 40000013
	v_mfma_f32_16x16x16_bf16 a[156:159], a[102:103], v[80:81], a[156:159]// 00000000974C: D3E1809C 0E72A166
	v_mfma_f32_16x16x16_bf16 a[112:115], a[104:105], v[82:83], a[112:115]// 000000009754: D3E18070 0DC2A568
	ds_read_b128 v[68:71], v19 offset:22016                    // 00000000975C: D9FE5600 44000013
	v_mfma_f32_16x16x16_bf16 a[116:119], a[106:107], v[82:83], a[116:119]// 000000009764: D3E18074 0DD2A56A
	buffer_atomic_add_f32 v158, v6, s[32:35], 0 idxen offset:128// 00000000976C: E1342080 80089E06
	v_mfma_f32_16x16x16_bf16 a[120:123], a[108:109], v[82:83], a[120:123]// 000000009774: D3E18078 0DE2A56C
	ds_read_b128 v[72:75], v19 offset:23168                    // 00000000977C: D9FE5A80 48000013
	v_mfma_f32_16x16x16_bf16 a[124:127], a[110:111], v[82:83], a[124:127]// 000000009784: D3E1807C 0DF2A56E
	v_mfma_f32_16x16x16_bf16 a[128:131], a[104:105], v[84:85], a[128:131]// 00000000978C: D3E18080 0E02A968
	ds_write_b32 v15, v104 offset:13056                        // 000000009794: D81A3300 0000680F
	v_mfma_f32_16x16x16_bf16 a[132:135], a[106:107], v[84:85], a[132:135]// 00000000979C: D3E18084 0E12A96A
	v_mfma_f32_16x16x16_bf16 a[136:139], a[108:109], v[84:85], a[136:139]// 0000000097A4: D3E18088 0E22A96C
	ds_write_b32 v15, v105 offset:14112                        // 0000000097AC: D81A3720 0000690F
	v_mfma_f32_16x16x16_bf16 a[140:143], a[110:111], v[84:85], a[140:143]// 0000000097B4: D3E1808C 0E32A96E
	buffer_atomic_add_f32 v159, v7, s[32:35], 0 idxen offset:128// 0000000097BC: E1342080 80089F07
	v_mfma_f32_16x16x16_bf16 a[144:147], a[104:105], v[86:87], a[144:147]// 0000000097C4: D3E18090 0E42AD68
	ds_write_b32 v15, v106 offset:15232                        // 0000000097CC: D81A3B80 00006A0F
	v_mfma_f32_16x16x16_bf16 a[148:151], a[106:107], v[86:87], a[148:151]// 0000000097D4: D3E18094 0E52AD6A
	v_mfma_f32_16x16x16_bf16 a[152:155], a[108:109], v[86:87], a[152:155]// 0000000097DC: D3E18098 0E62AD6C
	ds_write_b32 v15, v107 offset:16288                        // 0000000097E4: D81A3FA0 00006B0F
	v_mfma_f32_16x16x16_bf16 a[156:159], a[110:111], v[86:87], a[156:159]// 0000000097EC: D3E1809C 0E72AD6E
	s_waitcnt vmcnt(8) lgkmcnt(4)                              // 0000000097F4: BF8C0478
	s_barrier                                                  // 0000000097F8: BF8A0000
	v_mfma_f32_16x16x16_bf16 v[148:151], v[52:53], a[24:25], 0 // 0000000097FC: D3E10094 12023134
	ds_read_b128 a[96:99], v12                                 // 000000009804: DBFE0000 6000000C
	buffer_load_dword v36, v1, s[8:11], 0 idxen                // 00000000980C: E0502000 80022401
	v_mfma_f32_16x16x16_bf16 v[148:151], v[54:55], a[28:29], v[148:151]// 000000009814: D3E10094 16523936
	v_mul_f32_e32 v140, s48, v140                              // 00000000981C: 0B191830
	v_mul_f32_e32 v144, s48, v144                              // 000000009820: 0B212030
	s_nop 0                                                    // 000000009824: BF800000
	v_mfma_f32_16x16x16_bf16 v[148:151], v[56:57], a[32:33], v[148:151]// 000000009828: D3E10094 16524138
	ds_read_b128 a[100:103], v12 offset:512                    // 000000009830: DBFE0200 6400000C
	buffer_load_dword v37, v2, s[8:11], 0 idxen                // 000000009838: E0502000 80022502
	v_mfma_f32_16x16x16_bf16 v[148:151], v[58:59], a[36:37], v[148:151]// 000000009840: D3E10094 1652493A
	v_mfma_f32_16x16x16_bf16 v[148:151], v[60:61], a[40:41], v[148:151]// 000000009848: D3E10094 1652513C
	ds_read_b128 a[104:107], v12 offset:2176                   // 000000009850: DBFE0880 6800000C
	buffer_load_dword v38, v3, s[8:11], 0 idxen                // 000000009858: E0502000 80022603
	v_mfma_f32_16x16x16_bf16 v[148:151], v[62:63], a[44:45], v[148:151]// 000000009860: D3E10094 1652593E
	v_perm_b32 v100, v41, v40, s63                             // 000000009868: D1ED0064 00FE5129
	v_perm_b32 v101, v41, v40, s64                             // 000000009870: D1ED0065 01025129
	v_mfma_f32_16x16x16_bf16 v[148:151], v[64:65], a[48:49], v[148:151]// 000000009878: D3E10094 16526140
	ds_read_b128 a[108:111], v12 offset:2688                   // 000000009880: DBFE0A80 6C00000C
	buffer_load_dword v39, v4, s[8:11], 0 idxen                // 000000009888: E0502000 80022704
	v_mfma_f32_16x16x16_bf16 v[148:151], v[66:67], a[52:53], v[148:151]// 000000009890: D3E10094 16526942
	v_perm_b32 v102, v43, v42, s63                             // 000000009898: D1ED0066 00FE552B
	v_perm_b32 v103, v43, v42, s64                             // 0000000098A0: D1ED0067 0102552B
	v_mfma_f32_16x16x16_bf16 v[148:151], v[68:69], a[56:57], v[148:151]// 0000000098A8: D3E10094 16527144
	ds_read_b128 v[108:111], v12 offset:8704                   // 0000000098B0: D9FE2200 6C00000C
	buffer_load_dword v44, v232, s[20:23], 0 idxen             // 0000000098B8: E0502000 80052CE8
	v_mfma_f32_16x16x16_bf16 v[148:151], v[70:71], a[60:61], v[148:151]// 0000000098C0: D3E10094 16527946
	v_perm_b32 v104, v49, v48, s63                             // 0000000098C8: D1ED0068 00FE6131
	v_perm_b32 v105, v49, v48, s64                             // 0000000098D0: D1ED0069 01026131
	v_mfma_f32_16x16x16_bf16 v[148:151], v[72:73], a[64:65], v[148:151]// 0000000098D8: D3E10094 16528148
	ds_read_b128 v[112:115], v12 offset:9216                   // 0000000098E0: D9FE2400 7000000C
	buffer_load_dword v45, v233, s[20:23], 0 idxen             // 0000000098E8: E0502000 80052DE9
	v_mfma_f32_16x16x16_bf16 v[148:151], v[74:75], a[68:69], v[148:151]// 0000000098F0: D3E10094 1652894A
	v_perm_b32 v106, v51, v50, s63                             // 0000000098F8: D1ED006A 00FE6533
	v_perm_b32 v107, v51, v50, s64                             // 000000009900: D1ED006B 01026533
	v_mfma_f32_16x16x16_bf16 v[152:155], v[52:53], a[26:27], 0 // 000000009908: D3E10098 12023534
	ds_read_b128 v[116:119], v12 offset:10880                  // 000000009910: D9FE2A80 7400000C
	buffer_load_dword v46, v234, s[20:23], 0 idxen             // 000000009918: E0502000 80052EEA
	v_mfma_f32_16x16x16_bf16 v[152:155], v[54:55], a[30:31], v[152:155]// 000000009920: D3E10098 16623D36
	v_mov_b32_dpp v143, v140 quad_perm:[3,3,3,3] row_mask:0xf bank_mask:0xf// 000000009928: 7F1E02FA FF00FF8C
	v_mov_b32_dpp v142, v140 quad_perm:[2,2,2,2] row_mask:0xf bank_mask:0xf// 000000009930: 7F1C02FA FF00AA8C
	v_mov_b32_dpp v141, v140 quad_perm:[1,1,1,1] row_mask:0xf bank_mask:0xf// 000000009938: 7F1A02FA FF00558C
	v_mov_b32_dpp v140, v140 quad_perm:[0,0,0,0] row_mask:0xf bank_mask:0xf// 000000009940: 7F1802FA FF00008C
	v_mfma_f32_16x16x16_bf16 v[152:155], v[56:57], a[34:35], v[152:155]// 000000009948: D3E10098 16624538
	ds_read_b128 v[120:123], v12 offset:11392                  // 000000009950: D9FE2C80 7800000C
	buffer_load_dword v47, v235, s[20:23], 0 idxen             // 000000009958: E0502000 80052FEB
	v_mfma_f32_16x16x16_bf16 v[152:155], v[58:59], a[38:39], v[152:155]// 000000009960: D3E10098 16624D3A
	v_mov_b32_dpp v147, v144 quad_perm:[3,3,3,3] row_mask:0xf bank_mask:0xf// 000000009968: 7F2602FA FF00FF90
	v_mov_b32_dpp v146, v144 quad_perm:[2,2,2,2] row_mask:0xf bank_mask:0xf// 000000009970: 7F2402FA FF00AA90
	v_mov_b32_dpp v145, v144 quad_perm:[1,1,1,1] row_mask:0xf bank_mask:0xf// 000000009978: 7F2202FA FF005590
	v_mov_b32_dpp v144, v144 quad_perm:[0,0,0,0] row_mask:0xf bank_mask:0xf// 000000009980: 7F2002FA FF000090
	s_add_u32 s60, 0x80, s59                                   // 000000009988: 803C3BFF 00000080
	v_mfma_f32_16x16x16_bf16 v[152:155], v[60:61], a[42:43], v[152:155]// 000000009990: D3E10098 1662553C
	buffer_load_dword v11, s[24:27], 0 idxen lds               // 000000009998: E0512000 8006000B
	v_mfma_f32_16x16x16_bf16 v[152:155], v[62:63], a[46:47], v[152:155]// 0000000099A0: D3E10098 16625D3E
	s_cmp_lt_u32 s60, s58                                      // 0000000099A8: BF0A3A3C
	s_cselect_b32 s68, s68, 0                                  // 0000000099AC: 85448044
	s_cselect_b32 s100, s100, 0                                // 0000000099B0: 85648064
	s_cselect_b32 s69, s69, 0                                  // 0000000099B4: 85458045
	v_mfma_f32_16x16x16_bf16 v[152:155], v[64:65], a[50:51], v[152:155]// 0000000099B8: D3E10098 16626540
	v_add_u32_e32 v1, s68, v1                                  // 0000000099C0: 68020244
	v_add_u32_e32 v2, s68, v2                                  // 0000000099C4: 68040444
	v_add_u32_e32 v3, s68, v3                                  // 0000000099C8: 68060644
	v_add_u32_e32 v4, s68, v4                                  // 0000000099CC: 68080844
	v_mfma_f32_16x16x16_bf16 v[152:155], v[66:67], a[54:55], v[152:155]// 0000000099D0: D3E10098 16626D42
	v_add_u32_e32 v232, s100, v232                             // 0000000099D8: 69D1D064
	v_add_u32_e32 v233, s100, v233                             // 0000000099DC: 69D3D264
	v_add_u32_e32 v234, s100, v234                             // 0000000099E0: 69D5D464
	v_add_u32_e32 v235, s100, v235                             // 0000000099E4: 69D7D664
	v_mfma_f32_16x16x16_bf16 v[152:155], v[68:69], a[58:59], v[152:155]// 0000000099E8: D3E10098 16627544
	s_mov_b32 m0, s81                                          // 0000000099F0: BEFC0051
	v_add_u32_e32 v11, s69, v11                                // 0000000099F4: 68161645
	v_mfma_f32_16x16x16_bf16 v[152:155], v[70:71], a[62:63], v[152:155]// 0000000099F8: D3E10098 16627D46
	s_cmp_ge_u32 s59, s73                                      // 000000009A00: BF09493B
	s_cselect_b32 s66, s67, s66                                // 000000009A04: 85424243
	v_mfma_f32_16x16x16_bf16 v[152:155], v[72:73], a[66:67], v[152:155]// 000000009A08: D3E10098 16628548
	s_addk_i32 s59, 0x20                                       // 000000009A10: B73B0020
	s_nop 0                                                    // 000000009A14: BF800000
	s_cmp_lt_i32 s59, s58                                      // 000000009A18: BF043A3B
	v_mfma_f32_16x16x16_bf16 v[152:155], v[74:75], a[70:71], v[152:155]// 000000009A1C: D3E10098 16628D4A
	s_cbranch_scc0 label_0EC5                                  // 000000009A24: BF84F7A9
	s_branch label_0EC8                                        // 000000009A28: BF82F7AB

0000000000009a2c <label_172F>:
	buffer_atomic_add_f32 v160, v8, s[32:35], 0 idxen          // 000000009A2C: E1342000 8008A008
	buffer_atomic_add_f32 v161, v9, s[32:35], 0 idxen          // 000000009A34: E1342000 8008A109
	buffer_atomic_add_f32 v162, v8, s[32:35], 0 idxen offset:128// 000000009A3C: E1342080 8008A208
	buffer_atomic_add_f32 v163, v9, s[32:35], 0 idxen offset:128// 000000009A44: E1342080 8008A309
	v_add_u32_e32 v6, s66, v6                                  // 000000009A4C: 680C0C42
	v_add_u32_e32 v7, s66, v7                                  // 000000009A50: 680E0E42
	v_add_u32_e32 v8, s66, v8                                  // 000000009A54: 68101042
	v_add_u32_e32 v9, s66, v9                                  // 000000009A58: 68121242
	v_lshrrev_b32_e32 v32, 5, v0                               // 000000009A5C: 20400085
	v_mul_i32_i24_e32 v27, 0x44, v32                           // 000000009A60: 0C3640FF 00000044
	v_and_b32_e32 v32, 31, v0                                  // 000000009A68: 2640009F
	v_mul_i32_i24_e32 v33, 2, v32                              // 000000009A6C: 0C424082
	v_add_u32_e32 v27, v33, v27                                // 000000009A70: 68363721
	s_mul_i32 s60, s46, 0x220                                  // 000000009A74: 923CFF2E 00000220
	v_add_u32_e32 v27, s60, v27                                // 000000009A7C: 6836363C
	v_lshlrev_b32_e32 v27, 2, v27                              // 000000009A80: 24363682
	v_mul_f32_e32 v148, s47, v148                              // 000000009A84: 0B29282F
	v_mul_f32_e32 v149, s47, v149                              // 000000009A88: 0B2B2A2F
	v_mul_f32_e32 v150, s47, v150                              // 000000009A8C: 0B2D2C2F
	v_mul_f32_e32 v151, s47, v151                              // 000000009A90: 0B2F2E2F
	v_mul_f32_e32 v152, s47, v152                              // 000000009A94: 0B31302F
	v_mul_f32_e32 v153, s47, v153                              // 000000009A98: 0B33322F
	v_mul_f32_e32 v154, s47, v154                              // 000000009A9C: 0B35342F
	v_mul_f32_e32 v155, s47, v155                              // 000000009AA0: 0B37362F
	ds_write_b64 v22, v[148:149] offset:31232                  // 000000009AA4: D89A7A00 00009416
	ds_write_b64 v22, v[150:151] offset:31744                  // 000000009AAC: D89A7C00 00009616
	ds_write_b64 v22, v[152:153] offset:32256                  // 000000009AB4: D89A7E00 00009816
	ds_write_b64 v22, v[154:155] offset:32768                  // 000000009ABC: D89A8000 00009A16
	s_waitcnt lgkmcnt(0)                                       // 000000009AC4: BF8CC07F
	s_barrier                                                  // 000000009AC8: BF8A0000
	ds_read_b64 v[156:157], v21 offset:31232                   // 000000009ACC: D8EC7A00 9C000015
	ds_read_b64 v[158:159], v21 offset:33280                   // 000000009AD4: D8EC8200 9E000015
	ds_read_b64 v[160:161], v21 offset:35328                   // 000000009ADC: D8EC8A00 A0000015
	ds_read_b64 v[162:163], v21 offset:37376                   // 000000009AE4: D8EC9200 A2000015
	s_waitcnt lgkmcnt(0)                                       // 000000009AEC: BF8CC07F
	s_barrier                                                  // 000000009AF0: BF8A0000
	buffer_atomic_add_f32 v156, v6, s[32:35], 0 idxen          // 000000009AF4: E1342000 80089C06
	buffer_atomic_add_f32 v157, v7, s[32:35], 0 idxen          // 000000009AFC: E1342000 80089D07
	buffer_atomic_add_f32 v158, v6, s[32:35], 0 idxen offset:128// 000000009B04: E1342080 80089E06
	buffer_atomic_add_f32 v159, v7, s[32:35], 0 idxen offset:128// 000000009B0C: E1342080 80089F07
	buffer_atomic_add_f32 v160, v8, s[32:35], 0 idxen          // 000000009B14: E1342000 8008A008
	buffer_atomic_add_f32 v161, v9, s[32:35], 0 idxen          // 000000009B1C: E1342000 8008A109
	buffer_atomic_add_f32 v162, v8, s[32:35], 0 idxen offset:128// 000000009B24: E1342080 8008A208
	buffer_atomic_add_f32 v163, v9, s[32:35], 0 idxen offset:128// 000000009B2C: E1342080 8008A309
	v_lshrrev_b32_e32 v32, 3, v0                               // 000000009B34: 20400083
	v_mul_i32_i24_e32 v26, 2, v32                              // 000000009B38: 0C344082
	v_and_b32_e32 v32, 7, v0                                   // 000000009B3C: 26400087
	v_mul_i32_i24_e32 v33, 0x44, v32                           // 000000009B40: 0C4240FF 00000044
	v_add_u32_e32 v26, v33, v26                                // 000000009B48: 68343521
	s_mul_i32 s60, s46, 0x220                                  // 000000009B4C: 923CFF2E 00000220
	v_add_u32_e32 v26, s60, v26                                // 000000009B54: 6834343C
	v_lshlrev_b32_e32 v26, 2, v26                              // 000000009B58: 24343482
	v_accvgpr_read_b32 v34, a112                               // 000000009B5C: D3D84022 18000170
	v_accvgpr_read_b32 v35, a113                               // 000000009B64: D3D84023 18000171
	v_mul_f32_e32 v34, s47, v34                                // 000000009B6C: 0A44442F
	v_mul_f32_e32 v35, s47, v35                                // 000000009B70: 0A46462F
	v_cmp_u_f32_e64 s[78:79], v34, v34                         // 000000009B74: D048004E 00024522
	v_bfe_u32 v228, v34, 16, 1                                 // 000000009B7C: D1C800E4 02052122
	v_add3_u32 v228, v34, v228, v231                           // 000000009B84: D1FF00E4 079FC922
	v_cndmask_b32_e64 v32, v228, v230, s[78:79]                // 000000009B8C: D1000020 013BCDE4
	v_lshrrev_b32_e32 v32, 16, v32                             // 000000009B94: 20404090
	v_cmp_u_f32_e64 s[78:79], v35, v35                         // 000000009B98: D048004E 00024723
	v_bfe_u32 v228, v35, 16, 1                                 // 000000009BA0: D1C800E4 02052123
	v_add3_u32 v228, v35, v228, v231                           // 000000009BA8: D1FF00E4 079FC923
	v_cndmask_b32_e64 v33, v228, v230, s[78:79]                // 000000009BB0: D1000021 013BCDE4
	v_and_or_b32 v52, v33, v229, v32                           // 000000009BB8: D2010034 0483CB21
	v_accvgpr_read_b32 v34, a114                               // 000000009BC0: D3D84022 18000172
	v_accvgpr_read_b32 v35, a115                               // 000000009BC8: D3D84023 18000173
	v_mul_f32_e32 v34, s47, v34                                // 000000009BD0: 0A44442F
	v_mul_f32_e32 v35, s47, v35                                // 000000009BD4: 0A46462F
	v_cmp_u_f32_e64 s[78:79], v34, v34                         // 000000009BD8: D048004E 00024522
	v_bfe_u32 v228, v34, 16, 1                                 // 000000009BE0: D1C800E4 02052122
	v_add3_u32 v228, v34, v228, v231                           // 000000009BE8: D1FF00E4 079FC922
	v_cndmask_b32_e64 v32, v228, v230, s[78:79]                // 000000009BF0: D1000020 013BCDE4
	v_lshrrev_b32_e32 v32, 16, v32                             // 000000009BF8: 20404090
	v_cmp_u_f32_e64 s[78:79], v35, v35                         // 000000009BFC: D048004E 00024723
	v_bfe_u32 v228, v35, 16, 1                                 // 000000009C04: D1C800E4 02052123
	v_add3_u32 v228, v35, v228, v231                           // 000000009C0C: D1FF00E4 079FC923
	v_cndmask_b32_e64 v33, v228, v230, s[78:79]                // 000000009C14: D1000021 013BCDE4
	v_and_or_b32 v53, v33, v229, v32                           // 000000009C1C: D2010035 0483CB21
	v_accvgpr_read_b32 v34, a116                               // 000000009C24: D3D84022 18000174
	v_accvgpr_read_b32 v35, a117                               // 000000009C2C: D3D84023 18000175
	v_mul_f32_e32 v34, s47, v34                                // 000000009C34: 0A44442F
	v_mul_f32_e32 v35, s47, v35                                // 000000009C38: 0A46462F
	v_cmp_u_f32_e64 s[78:79], v34, v34                         // 000000009C3C: D048004E 00024522
	v_bfe_u32 v228, v34, 16, 1                                 // 000000009C44: D1C800E4 02052122
	v_add3_u32 v228, v34, v228, v231                           // 000000009C4C: D1FF00E4 079FC922
	v_cndmask_b32_e64 v32, v228, v230, s[78:79]                // 000000009C54: D1000020 013BCDE4
	v_lshrrev_b32_e32 v32, 16, v32                             // 000000009C5C: 20404090
	v_cmp_u_f32_e64 s[78:79], v35, v35                         // 000000009C60: D048004E 00024723
	v_bfe_u32 v228, v35, 16, 1                                 // 000000009C68: D1C800E4 02052123
	v_add3_u32 v228, v35, v228, v231                           // 000000009C70: D1FF00E4 079FC923
	v_cndmask_b32_e64 v33, v228, v230, s[78:79]                // 000000009C78: D1000021 013BCDE4
	v_and_or_b32 v54, v33, v229, v32                           // 000000009C80: D2010036 0483CB21
	v_accvgpr_read_b32 v34, a118                               // 000000009C88: D3D84022 18000176
	v_accvgpr_read_b32 v35, a119                               // 000000009C90: D3D84023 18000177
	v_mul_f32_e32 v34, s47, v34                                // 000000009C98: 0A44442F
	v_mul_f32_e32 v35, s47, v35                                // 000000009C9C: 0A46462F
	v_cmp_u_f32_e64 s[78:79], v34, v34                         // 000000009CA0: D048004E 00024522
	v_bfe_u32 v228, v34, 16, 1                                 // 000000009CA8: D1C800E4 02052122
	v_add3_u32 v228, v34, v228, v231                           // 000000009CB0: D1FF00E4 079FC922
	v_cndmask_b32_e64 v32, v228, v230, s[78:79]                // 000000009CB8: D1000020 013BCDE4
	v_lshrrev_b32_e32 v32, 16, v32                             // 000000009CC0: 20404090
	v_cmp_u_f32_e64 s[78:79], v35, v35                         // 000000009CC4: D048004E 00024723
	v_bfe_u32 v228, v35, 16, 1                                 // 000000009CCC: D1C800E4 02052123
	v_add3_u32 v228, v35, v228, v231                           // 000000009CD4: D1FF00E4 079FC923
	v_cndmask_b32_e64 v33, v228, v230, s[78:79]                // 000000009CDC: D1000021 013BCDE4
	v_and_or_b32 v55, v33, v229, v32                           // 000000009CE4: D2010037 0483CB21
	v_accvgpr_read_b32 v34, a120                               // 000000009CEC: D3D84022 18000178
	v_accvgpr_read_b32 v35, a121                               // 000000009CF4: D3D84023 18000179
	v_mul_f32_e32 v34, s47, v34                                // 000000009CFC: 0A44442F
	v_mul_f32_e32 v35, s47, v35                                // 000000009D00: 0A46462F
	v_cmp_u_f32_e64 s[78:79], v34, v34                         // 000000009D04: D048004E 00024522
	v_bfe_u32 v228, v34, 16, 1                                 // 000000009D0C: D1C800E4 02052122
	v_add3_u32 v228, v34, v228, v231                           // 000000009D14: D1FF00E4 079FC922
	v_cndmask_b32_e64 v32, v228, v230, s[78:79]                // 000000009D1C: D1000020 013BCDE4
	v_lshrrev_b32_e32 v32, 16, v32                             // 000000009D24: 20404090
	v_cmp_u_f32_e64 s[78:79], v35, v35                         // 000000009D28: D048004E 00024723
	v_bfe_u32 v228, v35, 16, 1                                 // 000000009D30: D1C800E4 02052123
	v_add3_u32 v228, v35, v228, v231                           // 000000009D38: D1FF00E4 079FC923
	v_cndmask_b32_e64 v33, v228, v230, s[78:79]                // 000000009D40: D1000021 013BCDE4
	v_and_or_b32 v56, v33, v229, v32                           // 000000009D48: D2010038 0483CB21
	v_accvgpr_read_b32 v34, a122                               // 000000009D50: D3D84022 1800017A
	v_accvgpr_read_b32 v35, a123                               // 000000009D58: D3D84023 1800017B
	v_mul_f32_e32 v34, s47, v34                                // 000000009D60: 0A44442F
	v_mul_f32_e32 v35, s47, v35                                // 000000009D64: 0A46462F
	v_cmp_u_f32_e64 s[78:79], v34, v34                         // 000000009D68: D048004E 00024522
	v_bfe_u32 v228, v34, 16, 1                                 // 000000009D70: D1C800E4 02052122
	v_add3_u32 v228, v34, v228, v231                           // 000000009D78: D1FF00E4 079FC922
	v_cndmask_b32_e64 v32, v228, v230, s[78:79]                // 000000009D80: D1000020 013BCDE4
	v_lshrrev_b32_e32 v32, 16, v32                             // 000000009D88: 20404090
	v_cmp_u_f32_e64 s[78:79], v35, v35                         // 000000009D8C: D048004E 00024723
	v_bfe_u32 v228, v35, 16, 1                                 // 000000009D94: D1C800E4 02052123
	v_add3_u32 v228, v35, v228, v231                           // 000000009D9C: D1FF00E4 079FC923
	v_cndmask_b32_e64 v33, v228, v230, s[78:79]                // 000000009DA4: D1000021 013BCDE4
	v_and_or_b32 v57, v33, v229, v32                           // 000000009DAC: D2010039 0483CB21
	v_accvgpr_read_b32 v34, a124                               // 000000009DB4: D3D84022 1800017C
	v_accvgpr_read_b32 v35, a125                               // 000000009DBC: D3D84023 1800017D
	v_mul_f32_e32 v34, s47, v34                                // 000000009DC4: 0A44442F
	v_mul_f32_e32 v35, s47, v35                                // 000000009DC8: 0A46462F
	v_cmp_u_f32_e64 s[78:79], v34, v34                         // 000000009DCC: D048004E 00024522
	v_bfe_u32 v228, v34, 16, 1                                 // 000000009DD4: D1C800E4 02052122
	v_add3_u32 v228, v34, v228, v231                           // 000000009DDC: D1FF00E4 079FC922
	v_cndmask_b32_e64 v32, v228, v230, s[78:79]                // 000000009DE4: D1000020 013BCDE4
	v_lshrrev_b32_e32 v32, 16, v32                             // 000000009DEC: 20404090
	v_cmp_u_f32_e64 s[78:79], v35, v35                         // 000000009DF0: D048004E 00024723
	v_bfe_u32 v228, v35, 16, 1                                 // 000000009DF8: D1C800E4 02052123
	v_add3_u32 v228, v35, v228, v231                           // 000000009E00: D1FF00E4 079FC923
	v_cndmask_b32_e64 v33, v228, v230, s[78:79]                // 000000009E08: D1000021 013BCDE4
	v_and_or_b32 v58, v33, v229, v32                           // 000000009E10: D201003A 0483CB21
	v_accvgpr_read_b32 v34, a126                               // 000000009E18: D3D84022 1800017E
	v_accvgpr_read_b32 v35, a127                               // 000000009E20: D3D84023 1800017F
	v_mul_f32_e32 v34, s47, v34                                // 000000009E28: 0A44442F
	v_mul_f32_e32 v35, s47, v35                                // 000000009E2C: 0A46462F
	v_cmp_u_f32_e64 s[78:79], v34, v34                         // 000000009E30: D048004E 00024522
	v_bfe_u32 v228, v34, 16, 1                                 // 000000009E38: D1C800E4 02052122
	v_add3_u32 v228, v34, v228, v231                           // 000000009E40: D1FF00E4 079FC922
	v_cndmask_b32_e64 v32, v228, v230, s[78:79]                // 000000009E48: D1000020 013BCDE4
	v_lshrrev_b32_e32 v32, 16, v32                             // 000000009E50: 20404090
	v_cmp_u_f32_e64 s[78:79], v35, v35                         // 000000009E54: D048004E 00024723
	v_bfe_u32 v228, v35, 16, 1                                 // 000000009E5C: D1C800E4 02052123
	v_add3_u32 v228, v35, v228, v231                           // 000000009E64: D1FF00E4 079FC923
	v_cndmask_b32_e64 v33, v228, v230, s[78:79]                // 000000009E6C: D1000021 013BCDE4
	v_and_or_b32 v59, v33, v229, v32                           // 000000009E74: D201003B 0483CB21
	ds_write_b64 v27, v[52:53]                                 // 000000009E7C: D89A0000 0000341B
	ds_write_b64 v27, v[54:55] offset:544                      // 000000009E84: D89A0220 0000361B
	ds_write_b64 v27, v[56:57] offset:1088                     // 000000009E8C: D89A0440 0000381B
	ds_write_b64 v27, v[58:59] offset:1632                     // 000000009E94: D89A0660 00003A1B
	s_waitcnt lgkmcnt(0)                                       // 000000009E9C: BF8CC07F
	s_barrier                                                  // 000000009EA0: BF8A0000
	ds_read_b64 v[52:53], v26                                  // 000000009EA4: D8EC0000 3400001A
	ds_read_b64 v[54:55], v26 offset:128                       // 000000009EAC: D8EC0080 3600001A
	ds_read_b64 v[56:57], v26 offset:64                        // 000000009EB4: D8EC0040 3800001A
	ds_read_b64 v[58:59], v26 offset:192                       // 000000009EBC: D8EC00C0 3A00001A
	s_waitcnt lgkmcnt(0)                                       // 000000009EC4: BF8CC07F
	s_mov_b32 s70, s52                                         // 000000009EC8: BEC60034
	buffer_store_dwordx4 v[52:55], v5, s[36:39], 0 idxen       // 000000009ECC: E07C2000 80093405
	s_mul_i32 s60, 2, s70                                      // 000000009ED4: 923C4682
	v_add_u32_e32 v5, s60, v5                                  // 000000009ED8: 680A0A3C
	buffer_store_dwordx4 v[56:59], v5, s[36:39], 0 idxen       // 000000009EDC: E07C2000 80093805
	s_mul_i32 s60, 2, s70                                      // 000000009EE4: 923C4682
	v_add_u32_e32 v5, s60, v5                                  // 000000009EE8: 680A0A3C
	s_mul_i32 s60, 12, s70                                     // 000000009EEC: 923C468C
	v_add_u32_e32 v5, s60, v5                                  // 000000009EF0: 680A0A3C
	s_barrier                                                  // 000000009EF4: BF8A0000
	s_cmp_ge_i32 1, s72                                        // 000000009EF8: BF034881
	s_cbranch_scc1 label_1A36                                  // 000000009EFC: BF8501D2
	v_accvgpr_read_b32 v34, a128                               // 000000009F00: D3D84022 18000180
	v_accvgpr_read_b32 v35, a129                               // 000000009F08: D3D84023 18000181
	v_mul_f32_e32 v34, s47, v34                                // 000000009F10: 0A44442F
	v_mul_f32_e32 v35, s47, v35                                // 000000009F14: 0A46462F
	v_cmp_u_f32_e64 s[78:79], v34, v34                         // 000000009F18: D048004E 00024522
	v_bfe_u32 v228, v34, 16, 1                                 // 000000009F20: D1C800E4 02052122
	v_add3_u32 v228, v34, v228, v231                           // 000000009F28: D1FF00E4 079FC922
	v_cndmask_b32_e64 v32, v228, v230, s[78:79]                // 000000009F30: D1000020 013BCDE4
	v_lshrrev_b32_e32 v32, 16, v32                             // 000000009F38: 20404090
	v_cmp_u_f32_e64 s[78:79], v35, v35                         // 000000009F3C: D048004E 00024723
	v_bfe_u32 v228, v35, 16, 1                                 // 000000009F44: D1C800E4 02052123
	v_add3_u32 v228, v35, v228, v231                           // 000000009F4C: D1FF00E4 079FC923
	v_cndmask_b32_e64 v33, v228, v230, s[78:79]                // 000000009F54: D1000021 013BCDE4
	v_and_or_b32 v60, v33, v229, v32                           // 000000009F5C: D201003C 0483CB21
	v_accvgpr_read_b32 v34, a130                               // 000000009F64: D3D84022 18000182
	v_accvgpr_read_b32 v35, a131                               // 000000009F6C: D3D84023 18000183
	v_mul_f32_e32 v34, s47, v34                                // 000000009F74: 0A44442F
	v_mul_f32_e32 v35, s47, v35                                // 000000009F78: 0A46462F
	v_cmp_u_f32_e64 s[78:79], v34, v34                         // 000000009F7C: D048004E 00024522
	v_bfe_u32 v228, v34, 16, 1                                 // 000000009F84: D1C800E4 02052122
	v_add3_u32 v228, v34, v228, v231                           // 000000009F8C: D1FF00E4 079FC922
	v_cndmask_b32_e64 v32, v228, v230, s[78:79]                // 000000009F94: D1000020 013BCDE4
	v_lshrrev_b32_e32 v32, 16, v32                             // 000000009F9C: 20404090
	v_cmp_u_f32_e64 s[78:79], v35, v35                         // 000000009FA0: D048004E 00024723
	v_bfe_u32 v228, v35, 16, 1                                 // 000000009FA8: D1C800E4 02052123
	v_add3_u32 v228, v35, v228, v231                           // 000000009FB0: D1FF00E4 079FC923
	v_cndmask_b32_e64 v33, v228, v230, s[78:79]                // 000000009FB8: D1000021 013BCDE4
	v_and_or_b32 v61, v33, v229, v32                           // 000000009FC0: D201003D 0483CB21
	v_accvgpr_read_b32 v34, a132                               // 000000009FC8: D3D84022 18000184
	v_accvgpr_read_b32 v35, a133                               // 000000009FD0: D3D84023 18000185
	v_mul_f32_e32 v34, s47, v34                                // 000000009FD8: 0A44442F
	v_mul_f32_e32 v35, s47, v35                                // 000000009FDC: 0A46462F
	v_cmp_u_f32_e64 s[78:79], v34, v34                         // 000000009FE0: D048004E 00024522
	v_bfe_u32 v228, v34, 16, 1                                 // 000000009FE8: D1C800E4 02052122
	v_add3_u32 v228, v34, v228, v231                           // 000000009FF0: D1FF00E4 079FC922
	v_cndmask_b32_e64 v32, v228, v230, s[78:79]                // 000000009FF8: D1000020 013BCDE4
	v_lshrrev_b32_e32 v32, 16, v32                             // 00000000A000: 20404090
	v_cmp_u_f32_e64 s[78:79], v35, v35                         // 00000000A004: D048004E 00024723
	v_bfe_u32 v228, v35, 16, 1                                 // 00000000A00C: D1C800E4 02052123
	v_add3_u32 v228, v35, v228, v231                           // 00000000A014: D1FF00E4 079FC923
	v_cndmask_b32_e64 v33, v228, v230, s[78:79]                // 00000000A01C: D1000021 013BCDE4
	v_and_or_b32 v62, v33, v229, v32                           // 00000000A024: D201003E 0483CB21
	v_accvgpr_read_b32 v34, a134                               // 00000000A02C: D3D84022 18000186
	v_accvgpr_read_b32 v35, a135                               // 00000000A034: D3D84023 18000187
	v_mul_f32_e32 v34, s47, v34                                // 00000000A03C: 0A44442F
	v_mul_f32_e32 v35, s47, v35                                // 00000000A040: 0A46462F
	v_cmp_u_f32_e64 s[78:79], v34, v34                         // 00000000A044: D048004E 00024522
	v_bfe_u32 v228, v34, 16, 1                                 // 00000000A04C: D1C800E4 02052122
	v_add3_u32 v228, v34, v228, v231                           // 00000000A054: D1FF00E4 079FC922
	v_cndmask_b32_e64 v32, v228, v230, s[78:79]                // 00000000A05C: D1000020 013BCDE4
	v_lshrrev_b32_e32 v32, 16, v32                             // 00000000A064: 20404090
	v_cmp_u_f32_e64 s[78:79], v35, v35                         // 00000000A068: D048004E 00024723
	v_bfe_u32 v228, v35, 16, 1                                 // 00000000A070: D1C800E4 02052123
	v_add3_u32 v228, v35, v228, v231                           // 00000000A078: D1FF00E4 079FC923
	v_cndmask_b32_e64 v33, v228, v230, s[78:79]                // 00000000A080: D1000021 013BCDE4
	v_and_or_b32 v63, v33, v229, v32                           // 00000000A088: D201003F 0483CB21
	v_accvgpr_read_b32 v34, a136                               // 00000000A090: D3D84022 18000188
	v_accvgpr_read_b32 v35, a137                               // 00000000A098: D3D84023 18000189
	v_mul_f32_e32 v34, s47, v34                                // 00000000A0A0: 0A44442F
	v_mul_f32_e32 v35, s47, v35                                // 00000000A0A4: 0A46462F
	v_cmp_u_f32_e64 s[78:79], v34, v34                         // 00000000A0A8: D048004E 00024522
	v_bfe_u32 v228, v34, 16, 1                                 // 00000000A0B0: D1C800E4 02052122
	v_add3_u32 v228, v34, v228, v231                           // 00000000A0B8: D1FF00E4 079FC922
	v_cndmask_b32_e64 v32, v228, v230, s[78:79]                // 00000000A0C0: D1000020 013BCDE4
	v_lshrrev_b32_e32 v32, 16, v32                             // 00000000A0C8: 20404090
	v_cmp_u_f32_e64 s[78:79], v35, v35                         // 00000000A0CC: D048004E 00024723
	v_bfe_u32 v228, v35, 16, 1                                 // 00000000A0D4: D1C800E4 02052123
	v_add3_u32 v228, v35, v228, v231                           // 00000000A0DC: D1FF00E4 079FC923
	v_cndmask_b32_e64 v33, v228, v230, s[78:79]                // 00000000A0E4: D1000021 013BCDE4
	v_and_or_b32 v64, v33, v229, v32                           // 00000000A0EC: D2010040 0483CB21
	v_accvgpr_read_b32 v34, a138                               // 00000000A0F4: D3D84022 1800018A
	v_accvgpr_read_b32 v35, a139                               // 00000000A0FC: D3D84023 1800018B
	v_mul_f32_e32 v34, s47, v34                                // 00000000A104: 0A44442F
	v_mul_f32_e32 v35, s47, v35                                // 00000000A108: 0A46462F
	v_cmp_u_f32_e64 s[78:79], v34, v34                         // 00000000A10C: D048004E 00024522
	v_bfe_u32 v228, v34, 16, 1                                 // 00000000A114: D1C800E4 02052122
	v_add3_u32 v228, v34, v228, v231                           // 00000000A11C: D1FF00E4 079FC922
	v_cndmask_b32_e64 v32, v228, v230, s[78:79]                // 00000000A124: D1000020 013BCDE4
	v_lshrrev_b32_e32 v32, 16, v32                             // 00000000A12C: 20404090
	v_cmp_u_f32_e64 s[78:79], v35, v35                         // 00000000A130: D048004E 00024723
	v_bfe_u32 v228, v35, 16, 1                                 // 00000000A138: D1C800E4 02052123
	v_add3_u32 v228, v35, v228, v231                           // 00000000A140: D1FF00E4 079FC923
	v_cndmask_b32_e64 v33, v228, v230, s[78:79]                // 00000000A148: D1000021 013BCDE4
	v_and_or_b32 v65, v33, v229, v32                           // 00000000A150: D2010041 0483CB21
	v_accvgpr_read_b32 v34, a140                               // 00000000A158: D3D84022 1800018C
	v_accvgpr_read_b32 v35, a141                               // 00000000A160: D3D84023 1800018D
	v_mul_f32_e32 v34, s47, v34                                // 00000000A168: 0A44442F
	v_mul_f32_e32 v35, s47, v35                                // 00000000A16C: 0A46462F
	v_cmp_u_f32_e64 s[78:79], v34, v34                         // 00000000A170: D048004E 00024522
	v_bfe_u32 v228, v34, 16, 1                                 // 00000000A178: D1C800E4 02052122
	v_add3_u32 v228, v34, v228, v231                           // 00000000A180: D1FF00E4 079FC922
	v_cndmask_b32_e64 v32, v228, v230, s[78:79]                // 00000000A188: D1000020 013BCDE4
	v_lshrrev_b32_e32 v32, 16, v32                             // 00000000A190: 20404090
	v_cmp_u_f32_e64 s[78:79], v35, v35                         // 00000000A194: D048004E 00024723
	v_bfe_u32 v228, v35, 16, 1                                 // 00000000A19C: D1C800E4 02052123
	v_add3_u32 v228, v35, v228, v231                           // 00000000A1A4: D1FF00E4 079FC923
	v_cndmask_b32_e64 v33, v228, v230, s[78:79]                // 00000000A1AC: D1000021 013BCDE4
	v_and_or_b32 v66, v33, v229, v32                           // 00000000A1B4: D2010042 0483CB21
	v_accvgpr_read_b32 v34, a142                               // 00000000A1BC: D3D84022 1800018E
	v_accvgpr_read_b32 v35, a143                               // 00000000A1C4: D3D84023 1800018F
	v_mul_f32_e32 v34, s47, v34                                // 00000000A1CC: 0A44442F
	v_mul_f32_e32 v35, s47, v35                                // 00000000A1D0: 0A46462F
	v_cmp_u_f32_e64 s[78:79], v34, v34                         // 00000000A1D4: D048004E 00024522
	v_bfe_u32 v228, v34, 16, 1                                 // 00000000A1DC: D1C800E4 02052122
	v_add3_u32 v228, v34, v228, v231                           // 00000000A1E4: D1FF00E4 079FC922
	v_cndmask_b32_e64 v32, v228, v230, s[78:79]                // 00000000A1EC: D1000020 013BCDE4
	v_lshrrev_b32_e32 v32, 16, v32                             // 00000000A1F4: 20404090
	v_cmp_u_f32_e64 s[78:79], v35, v35                         // 00000000A1F8: D048004E 00024723
	v_bfe_u32 v228, v35, 16, 1                                 // 00000000A200: D1C800E4 02052123
	v_add3_u32 v228, v35, v228, v231                           // 00000000A208: D1FF00E4 079FC923
	v_cndmask_b32_e64 v33, v228, v230, s[78:79]                // 00000000A210: D1000021 013BCDE4
	v_and_or_b32 v67, v33, v229, v32                           // 00000000A218: D2010043 0483CB21
	ds_write_b64 v27, v[60:61] offset:8704                     // 00000000A220: D89A2200 00003C1B
	ds_write_b64 v27, v[62:63] offset:9248                     // 00000000A228: D89A2420 00003E1B
	ds_write_b64 v27, v[64:65] offset:9792                     // 00000000A230: D89A2640 0000401B
	ds_write_b64 v27, v[66:67] offset:10336                    // 00000000A238: D89A2860 0000421B
	s_waitcnt lgkmcnt(0)                                       // 00000000A240: BF8CC07F
	s_barrier                                                  // 00000000A244: BF8A0000
	ds_read_b64 v[60:61], v26 offset:8704                      // 00000000A248: D8EC2200 3C00001A
	ds_read_b64 v[62:63], v26 offset:8832                      // 00000000A250: D8EC2280 3E00001A
	ds_read_b64 v[64:65], v26 offset:8768                      // 00000000A258: D8EC2240 4000001A
	ds_read_b64 v[66:67], v26 offset:8896                      // 00000000A260: D8EC22C0 4200001A
	s_waitcnt lgkmcnt(0)                                       // 00000000A268: BF8CC07F
	s_mov_b32 s70, s52                                         // 00000000A26C: BEC60034
	buffer_store_dwordx4 v[60:63], v5, s[36:39], 0 idxen       // 00000000A270: E07C2000 80093C05
	s_mul_i32 s60, 2, s70                                      // 00000000A278: 923C4682
	v_add_u32_e32 v5, s60, v5                                  // 00000000A27C: 680A0A3C
	buffer_store_dwordx4 v[64:67], v5, s[36:39], 0 idxen       // 00000000A280: E07C2000 80094005
	s_mul_i32 s60, 2, s70                                      // 00000000A288: 923C4682
	v_add_u32_e32 v5, s60, v5                                  // 00000000A28C: 680A0A3C
	s_mul_i32 s60, 12, s70                                     // 00000000A290: 923C468C
	v_add_u32_e32 v5, s60, v5                                  // 00000000A294: 680A0A3C
	s_barrier                                                  // 00000000A298: BF8A0000
	s_cmp_ge_i32 2, s72                                        // 00000000A29C: BF034882
	s_cbranch_scc1 label_1A36                                  // 00000000A2A0: BF8500E9
	v_accvgpr_read_b32 v34, a144                               // 00000000A2A4: D3D84022 18000190
	v_accvgpr_read_b32 v35, a145                               // 00000000A2AC: D3D84023 18000191
	v_mul_f32_e32 v34, s47, v34                                // 00000000A2B4: 0A44442F
	v_mul_f32_e32 v35, s47, v35                                // 00000000A2B8: 0A46462F
	v_cmp_u_f32_e64 s[78:79], v34, v34                         // 00000000A2BC: D048004E 00024522
	v_bfe_u32 v228, v34, 16, 1                                 // 00000000A2C4: D1C800E4 02052122
	v_add3_u32 v228, v34, v228, v231                           // 00000000A2CC: D1FF00E4 079FC922
	v_cndmask_b32_e64 v32, v228, v230, s[78:79]                // 00000000A2D4: D1000020 013BCDE4
	v_lshrrev_b32_e32 v32, 16, v32                             // 00000000A2DC: 20404090
	v_cmp_u_f32_e64 s[78:79], v35, v35                         // 00000000A2E0: D048004E 00024723
	v_bfe_u32 v228, v35, 16, 1                                 // 00000000A2E8: D1C800E4 02052123
	v_add3_u32 v228, v35, v228, v231                           // 00000000A2F0: D1FF00E4 079FC923
	v_cndmask_b32_e64 v33, v228, v230, s[78:79]                // 00000000A2F8: D1000021 013BCDE4
	v_and_or_b32 v68, v33, v229, v32                           // 00000000A300: D2010044 0483CB21
	v_accvgpr_read_b32 v34, a146                               // 00000000A308: D3D84022 18000192
	v_accvgpr_read_b32 v35, a147                               // 00000000A310: D3D84023 18000193
	v_mul_f32_e32 v34, s47, v34                                // 00000000A318: 0A44442F
	v_mul_f32_e32 v35, s47, v35                                // 00000000A31C: 0A46462F
	v_cmp_u_f32_e64 s[78:79], v34, v34                         // 00000000A320: D048004E 00024522
	v_bfe_u32 v228, v34, 16, 1                                 // 00000000A328: D1C800E4 02052122
	v_add3_u32 v228, v34, v228, v231                           // 00000000A330: D1FF00E4 079FC922
	v_cndmask_b32_e64 v32, v228, v230, s[78:79]                // 00000000A338: D1000020 013BCDE4
	v_lshrrev_b32_e32 v32, 16, v32                             // 00000000A340: 20404090
	v_cmp_u_f32_e64 s[78:79], v35, v35                         // 00000000A344: D048004E 00024723
	v_bfe_u32 v228, v35, 16, 1                                 // 00000000A34C: D1C800E4 02052123
	v_add3_u32 v228, v35, v228, v231                           // 00000000A354: D1FF00E4 079FC923
	v_cndmask_b32_e64 v33, v228, v230, s[78:79]                // 00000000A35C: D1000021 013BCDE4
	v_and_or_b32 v69, v33, v229, v32                           // 00000000A364: D2010045 0483CB21
	v_accvgpr_read_b32 v34, a148                               // 00000000A36C: D3D84022 18000194
	v_accvgpr_read_b32 v35, a149                               // 00000000A374: D3D84023 18000195
	v_mul_f32_e32 v34, s47, v34                                // 00000000A37C: 0A44442F
	v_mul_f32_e32 v35, s47, v35                                // 00000000A380: 0A46462F
	v_cmp_u_f32_e64 s[78:79], v34, v34                         // 00000000A384: D048004E 00024522
	v_bfe_u32 v228, v34, 16, 1                                 // 00000000A38C: D1C800E4 02052122
	v_add3_u32 v228, v34, v228, v231                           // 00000000A394: D1FF00E4 079FC922
	v_cndmask_b32_e64 v32, v228, v230, s[78:79]                // 00000000A39C: D1000020 013BCDE4
	v_lshrrev_b32_e32 v32, 16, v32                             // 00000000A3A4: 20404090
	v_cmp_u_f32_e64 s[78:79], v35, v35                         // 00000000A3A8: D048004E 00024723
	v_bfe_u32 v228, v35, 16, 1                                 // 00000000A3B0: D1C800E4 02052123
	v_add3_u32 v228, v35, v228, v231                           // 00000000A3B8: D1FF00E4 079FC923
	v_cndmask_b32_e64 v33, v228, v230, s[78:79]                // 00000000A3C0: D1000021 013BCDE4
	v_and_or_b32 v70, v33, v229, v32                           // 00000000A3C8: D2010046 0483CB21
	v_accvgpr_read_b32 v34, a150                               // 00000000A3D0: D3D84022 18000196
	v_accvgpr_read_b32 v35, a151                               // 00000000A3D8: D3D84023 18000197
	v_mul_f32_e32 v34, s47, v34                                // 00000000A3E0: 0A44442F
	v_mul_f32_e32 v35, s47, v35                                // 00000000A3E4: 0A46462F
	v_cmp_u_f32_e64 s[78:79], v34, v34                         // 00000000A3E8: D048004E 00024522
	v_bfe_u32 v228, v34, 16, 1                                 // 00000000A3F0: D1C800E4 02052122
	v_add3_u32 v228, v34, v228, v231                           // 00000000A3F8: D1FF00E4 079FC922
	v_cndmask_b32_e64 v32, v228, v230, s[78:79]                // 00000000A400: D1000020 013BCDE4
	v_lshrrev_b32_e32 v32, 16, v32                             // 00000000A408: 20404090
	v_cmp_u_f32_e64 s[78:79], v35, v35                         // 00000000A40C: D048004E 00024723
	v_bfe_u32 v228, v35, 16, 1                                 // 00000000A414: D1C800E4 02052123
	v_add3_u32 v228, v35, v228, v231                           // 00000000A41C: D1FF00E4 079FC923
	v_cndmask_b32_e64 v33, v228, v230, s[78:79]                // 00000000A424: D1000021 013BCDE4
	v_and_or_b32 v71, v33, v229, v32                           // 00000000A42C: D2010047 0483CB21
	v_accvgpr_read_b32 v34, a152                               // 00000000A434: D3D84022 18000198
	v_accvgpr_read_b32 v35, a153                               // 00000000A43C: D3D84023 18000199
	v_mul_f32_e32 v34, s47, v34                                // 00000000A444: 0A44442F
	v_mul_f32_e32 v35, s47, v35                                // 00000000A448: 0A46462F
	v_cmp_u_f32_e64 s[78:79], v34, v34                         // 00000000A44C: D048004E 00024522
	v_bfe_u32 v228, v34, 16, 1                                 // 00000000A454: D1C800E4 02052122
	v_add3_u32 v228, v34, v228, v231                           // 00000000A45C: D1FF00E4 079FC922
	v_cndmask_b32_e64 v32, v228, v230, s[78:79]                // 00000000A464: D1000020 013BCDE4
	v_lshrrev_b32_e32 v32, 16, v32                             // 00000000A46C: 20404090
	v_cmp_u_f32_e64 s[78:79], v35, v35                         // 00000000A470: D048004E 00024723
	v_bfe_u32 v228, v35, 16, 1                                 // 00000000A478: D1C800E4 02052123
	v_add3_u32 v228, v35, v228, v231                           // 00000000A480: D1FF00E4 079FC923
	v_cndmask_b32_e64 v33, v228, v230, s[78:79]                // 00000000A488: D1000021 013BCDE4
	v_and_or_b32 v72, v33, v229, v32                           // 00000000A490: D2010048 0483CB21
	v_accvgpr_read_b32 v34, a154                               // 00000000A498: D3D84022 1800019A
	v_accvgpr_read_b32 v35, a155                               // 00000000A4A0: D3D84023 1800019B
	v_mul_f32_e32 v34, s47, v34                                // 00000000A4A8: 0A44442F
	v_mul_f32_e32 v35, s47, v35                                // 00000000A4AC: 0A46462F
	v_cmp_u_f32_e64 s[78:79], v34, v34                         // 00000000A4B0: D048004E 00024522
	v_bfe_u32 v228, v34, 16, 1                                 // 00000000A4B8: D1C800E4 02052122
	v_add3_u32 v228, v34, v228, v231                           // 00000000A4C0: D1FF00E4 079FC922
	v_cndmask_b32_e64 v32, v228, v230, s[78:79]                // 00000000A4C8: D1000020 013BCDE4
	v_lshrrev_b32_e32 v32, 16, v32                             // 00000000A4D0: 20404090
	v_cmp_u_f32_e64 s[78:79], v35, v35                         // 00000000A4D4: D048004E 00024723
	v_bfe_u32 v228, v35, 16, 1                                 // 00000000A4DC: D1C800E4 02052123
	v_add3_u32 v228, v35, v228, v231                           // 00000000A4E4: D1FF00E4 079FC923
	v_cndmask_b32_e64 v33, v228, v230, s[78:79]                // 00000000A4EC: D1000021 013BCDE4
	v_and_or_b32 v73, v33, v229, v32                           // 00000000A4F4: D2010049 0483CB21
	v_accvgpr_read_b32 v34, a156                               // 00000000A4FC: D3D84022 1800019C
	v_accvgpr_read_b32 v35, a157                               // 00000000A504: D3D84023 1800019D
	v_mul_f32_e32 v34, s47, v34                                // 00000000A50C: 0A44442F
	v_mul_f32_e32 v35, s47, v35                                // 00000000A510: 0A46462F
	v_cmp_u_f32_e64 s[78:79], v34, v34                         // 00000000A514: D048004E 00024522
	v_bfe_u32 v228, v34, 16, 1                                 // 00000000A51C: D1C800E4 02052122
	v_add3_u32 v228, v34, v228, v231                           // 00000000A524: D1FF00E4 079FC922
	v_cndmask_b32_e64 v32, v228, v230, s[78:79]                // 00000000A52C: D1000020 013BCDE4
	v_lshrrev_b32_e32 v32, 16, v32                             // 00000000A534: 20404090
	v_cmp_u_f32_e64 s[78:79], v35, v35                         // 00000000A538: D048004E 00024723
	v_bfe_u32 v228, v35, 16, 1                                 // 00000000A540: D1C800E4 02052123
	v_add3_u32 v228, v35, v228, v231                           // 00000000A548: D1FF00E4 079FC923
	v_cndmask_b32_e64 v33, v228, v230, s[78:79]                // 00000000A550: D1000021 013BCDE4
	v_and_or_b32 v74, v33, v229, v32                           // 00000000A558: D201004A 0483CB21
	v_accvgpr_read_b32 v34, a158                               // 00000000A560: D3D84022 1800019E
	v_accvgpr_read_b32 v35, a159                               // 00000000A568: D3D84023 1800019F
	v_mul_f32_e32 v34, s47, v34                                // 00000000A570: 0A44442F
	v_mul_f32_e32 v35, s47, v35                                // 00000000A574: 0A46462F
	v_cmp_u_f32_e64 s[78:79], v34, v34                         // 00000000A578: D048004E 00024522
	v_bfe_u32 v228, v34, 16, 1                                 // 00000000A580: D1C800E4 02052122
	v_add3_u32 v228, v34, v228, v231                           // 00000000A588: D1FF00E4 079FC922
	v_cndmask_b32_e64 v32, v228, v230, s[78:79]                // 00000000A590: D1000020 013BCDE4
	v_lshrrev_b32_e32 v32, 16, v32                             // 00000000A598: 20404090
	v_cmp_u_f32_e64 s[78:79], v35, v35                         // 00000000A59C: D048004E 00024723
	v_bfe_u32 v228, v35, 16, 1                                 // 00000000A5A4: D1C800E4 02052123
	v_add3_u32 v228, v35, v228, v231                           // 00000000A5AC: D1FF00E4 079FC923
	v_cndmask_b32_e64 v33, v228, v230, s[78:79]                // 00000000A5B4: D1000021 013BCDE4
	v_and_or_b32 v75, v33, v229, v32                           // 00000000A5BC: D201004B 0483CB21
	ds_write_b64 v27, v[68:69] offset:17408                    // 00000000A5C4: D89A4400 0000441B
	ds_write_b64 v27, v[70:71] offset:17952                    // 00000000A5CC: D89A4620 0000461B
	ds_write_b64 v27, v[72:73] offset:18496                    // 00000000A5D4: D89A4840 0000481B
	ds_write_b64 v27, v[74:75] offset:19040                    // 00000000A5DC: D89A4A60 00004A1B
	s_waitcnt lgkmcnt(0)                                       // 00000000A5E4: BF8CC07F
	s_barrier                                                  // 00000000A5E8: BF8A0000
	ds_read_b64 v[68:69], v26 offset:17408                     // 00000000A5EC: D8EC4400 4400001A
	ds_read_b64 v[70:71], v26 offset:17536                     // 00000000A5F4: D8EC4480 4600001A
	ds_read_b64 v[72:73], v26 offset:17472                     // 00000000A5FC: D8EC4440 4800001A
	ds_read_b64 v[74:75], v26 offset:17600                     // 00000000A604: D8EC44C0 4A00001A
	s_waitcnt lgkmcnt(0)                                       // 00000000A60C: BF8CC07F
	s_mov_b32 s70, s52                                         // 00000000A610: BEC60034
	buffer_store_dwordx4 v[68:71], v5, s[36:39], 0 idxen       // 00000000A614: E07C2000 80094405
	s_mul_i32 s60, 2, s70                                      // 00000000A61C: 923C4682
	v_add_u32_e32 v5, s60, v5                                  // 00000000A620: 680A0A3C
	buffer_store_dwordx4 v[72:75], v5, s[36:39], 0 idxen       // 00000000A624: E07C2000 80094805
	s_mul_i32 s60, 2, s70                                      // 00000000A62C: 923C4682
	v_add_u32_e32 v5, s60, v5                                  // 00000000A630: 680A0A3C
	s_mul_i32 s60, 12, s70                                     // 00000000A634: 923C468C
	v_add_u32_e32 v5, s60, v5                                  // 00000000A638: 680A0A3C
	s_barrier                                                  // 00000000A63C: BF8A0000
	s_cmp_ge_i32 3, s72                                        // 00000000A640: BF034883
	s_cbranch_scc1 label_1A36                                  // 00000000A644: BF850000

000000000000a648 <label_1A36>:
	v_mov_b32_e32 v34, v180                                    // 00000000A648: 7E4403B4
	v_mov_b32_e32 v35, v181                                    // 00000000A64C: 7E4603B5
	v_cmp_u_f32_e64 s[78:79], v34, v34                         // 00000000A650: D048004E 00024522
	v_bfe_u32 v228, v34, 16, 1                                 // 00000000A658: D1C800E4 02052122
	v_add3_u32 v228, v34, v228, v231                           // 00000000A660: D1FF00E4 079FC922
	v_cndmask_b32_e64 v32, v228, v230, s[78:79]                // 00000000A668: D1000020 013BCDE4
	v_lshrrev_b32_e32 v32, 16, v32                             // 00000000A670: 20404090
	v_cmp_u_f32_e64 s[78:79], v35, v35                         // 00000000A674: D048004E 00024723
	v_bfe_u32 v228, v35, 16, 1                                 // 00000000A67C: D1C800E4 02052123
	v_add3_u32 v228, v35, v228, v231                           // 00000000A684: D1FF00E4 079FC923
	v_cndmask_b32_e64 v33, v228, v230, s[78:79]                // 00000000A68C: D1000021 013BCDE4
	v_and_or_b32 v180, v33, v229, v32                          // 00000000A694: D20100B4 0483CB21
	v_mov_b32_e32 v34, v182                                    // 00000000A69C: 7E4403B6
	v_mov_b32_e32 v35, v183                                    // 00000000A6A0: 7E4603B7
	v_cmp_u_f32_e64 s[78:79], v34, v34                         // 00000000A6A4: D048004E 00024522
	v_bfe_u32 v228, v34, 16, 1                                 // 00000000A6AC: D1C800E4 02052122
	v_add3_u32 v228, v34, v228, v231                           // 00000000A6B4: D1FF00E4 079FC922
	v_cndmask_b32_e64 v32, v228, v230, s[78:79]                // 00000000A6BC: D1000020 013BCDE4
	v_lshrrev_b32_e32 v32, 16, v32                             // 00000000A6C4: 20404090
	v_cmp_u_f32_e64 s[78:79], v35, v35                         // 00000000A6C8: D048004E 00024723
	v_bfe_u32 v228, v35, 16, 1                                 // 00000000A6D0: D1C800E4 02052123
	v_add3_u32 v228, v35, v228, v231                           // 00000000A6D8: D1FF00E4 079FC923
	v_cndmask_b32_e64 v33, v228, v230, s[78:79]                // 00000000A6E0: D1000021 013BCDE4
	v_and_or_b32 v181, v33, v229, v32                          // 00000000A6E8: D20100B5 0483CB21
	v_mov_b32_e32 v34, v184                                    // 00000000A6F0: 7E4403B8
	v_mov_b32_e32 v35, v185                                    // 00000000A6F4: 7E4603B9
	v_cmp_u_f32_e64 s[78:79], v34, v34                         // 00000000A6F8: D048004E 00024522
	v_bfe_u32 v228, v34, 16, 1                                 // 00000000A700: D1C800E4 02052122
	v_add3_u32 v228, v34, v228, v231                           // 00000000A708: D1FF00E4 079FC922
	v_cndmask_b32_e64 v32, v228, v230, s[78:79]                // 00000000A710: D1000020 013BCDE4
	v_lshrrev_b32_e32 v32, 16, v32                             // 00000000A718: 20404090
	v_cmp_u_f32_e64 s[78:79], v35, v35                         // 00000000A71C: D048004E 00024723
	v_bfe_u32 v228, v35, 16, 1                                 // 00000000A724: D1C800E4 02052123
	v_add3_u32 v228, v35, v228, v231                           // 00000000A72C: D1FF00E4 079FC923
	v_cndmask_b32_e64 v33, v228, v230, s[78:79]                // 00000000A734: D1000021 013BCDE4
	v_and_or_b32 v182, v33, v229, v32                          // 00000000A73C: D20100B6 0483CB21
	v_mov_b32_e32 v34, v186                                    // 00000000A744: 7E4403BA
	v_mov_b32_e32 v35, v187                                    // 00000000A748: 7E4603BB
	v_cmp_u_f32_e64 s[78:79], v34, v34                         // 00000000A74C: D048004E 00024522
	v_bfe_u32 v228, v34, 16, 1                                 // 00000000A754: D1C800E4 02052122
	v_add3_u32 v228, v34, v228, v231                           // 00000000A75C: D1FF00E4 079FC922
	v_cndmask_b32_e64 v32, v228, v230, s[78:79]                // 00000000A764: D1000020 013BCDE4
	v_lshrrev_b32_e32 v32, 16, v32                             // 00000000A76C: 20404090
	v_cmp_u_f32_e64 s[78:79], v35, v35                         // 00000000A770: D048004E 00024723
	v_bfe_u32 v228, v35, 16, 1                                 // 00000000A778: D1C800E4 02052123
	v_add3_u32 v228, v35, v228, v231                           // 00000000A780: D1FF00E4 079FC923
	v_cndmask_b32_e64 v33, v228, v230, s[78:79]                // 00000000A788: D1000021 013BCDE4
	v_and_or_b32 v183, v33, v229, v32                          // 00000000A790: D20100B7 0483CB21
	v_mov_b32_e32 v34, v188                                    // 00000000A798: 7E4403BC
	v_mov_b32_e32 v35, v189                                    // 00000000A79C: 7E4603BD
	v_cmp_u_f32_e64 s[78:79], v34, v34                         // 00000000A7A0: D048004E 00024522
	v_bfe_u32 v228, v34, 16, 1                                 // 00000000A7A8: D1C800E4 02052122
	v_add3_u32 v228, v34, v228, v231                           // 00000000A7B0: D1FF00E4 079FC922
	v_cndmask_b32_e64 v32, v228, v230, s[78:79]                // 00000000A7B8: D1000020 013BCDE4
	v_lshrrev_b32_e32 v32, 16, v32                             // 00000000A7C0: 20404090
	v_cmp_u_f32_e64 s[78:79], v35, v35                         // 00000000A7C4: D048004E 00024723
	v_bfe_u32 v228, v35, 16, 1                                 // 00000000A7CC: D1C800E4 02052123
	v_add3_u32 v228, v35, v228, v231                           // 00000000A7D4: D1FF00E4 079FC923
	v_cndmask_b32_e64 v33, v228, v230, s[78:79]                // 00000000A7DC: D1000021 013BCDE4
	v_and_or_b32 v184, v33, v229, v32                          // 00000000A7E4: D20100B8 0483CB21
	v_mov_b32_e32 v34, v190                                    // 00000000A7EC: 7E4403BE
	v_mov_b32_e32 v35, v191                                    // 00000000A7F0: 7E4603BF
	v_cmp_u_f32_e64 s[78:79], v34, v34                         // 00000000A7F4: D048004E 00024522
	v_bfe_u32 v228, v34, 16, 1                                 // 00000000A7FC: D1C800E4 02052122
	v_add3_u32 v228, v34, v228, v231                           // 00000000A804: D1FF00E4 079FC922
	v_cndmask_b32_e64 v32, v228, v230, s[78:79]                // 00000000A80C: D1000020 013BCDE4
	v_lshrrev_b32_e32 v32, 16, v32                             // 00000000A814: 20404090
	v_cmp_u_f32_e64 s[78:79], v35, v35                         // 00000000A818: D048004E 00024723
	v_bfe_u32 v228, v35, 16, 1                                 // 00000000A820: D1C800E4 02052123
	v_add3_u32 v228, v35, v228, v231                           // 00000000A828: D1FF00E4 079FC923
	v_cndmask_b32_e64 v33, v228, v230, s[78:79]                // 00000000A830: D1000021 013BCDE4
	v_and_or_b32 v185, v33, v229, v32                          // 00000000A838: D20100B9 0483CB21
	v_mov_b32_e32 v34, v192                                    // 00000000A840: 7E4403C0
	v_mov_b32_e32 v35, v193                                    // 00000000A844: 7E4603C1
	v_cmp_u_f32_e64 s[78:79], v34, v34                         // 00000000A848: D048004E 00024522
	v_bfe_u32 v228, v34, 16, 1                                 // 00000000A850: D1C800E4 02052122
	v_add3_u32 v228, v34, v228, v231                           // 00000000A858: D1FF00E4 079FC922
	v_cndmask_b32_e64 v32, v228, v230, s[78:79]                // 00000000A860: D1000020 013BCDE4
	v_lshrrev_b32_e32 v32, 16, v32                             // 00000000A868: 20404090
	v_cmp_u_f32_e64 s[78:79], v35, v35                         // 00000000A86C: D048004E 00024723
	v_bfe_u32 v228, v35, 16, 1                                 // 00000000A874: D1C800E4 02052123
	v_add3_u32 v228, v35, v228, v231                           // 00000000A87C: D1FF00E4 079FC923
	v_cndmask_b32_e64 v33, v228, v230, s[78:79]                // 00000000A884: D1000021 013BCDE4
	v_and_or_b32 v186, v33, v229, v32                          // 00000000A88C: D20100BA 0483CB21
	v_mov_b32_e32 v34, v194                                    // 00000000A894: 7E4403C2
	v_mov_b32_e32 v35, v195                                    // 00000000A898: 7E4603C3
	v_cmp_u_f32_e64 s[78:79], v34, v34                         // 00000000A89C: D048004E 00024522
	v_bfe_u32 v228, v34, 16, 1                                 // 00000000A8A4: D1C800E4 02052122
	v_add3_u32 v228, v34, v228, v231                           // 00000000A8AC: D1FF00E4 079FC922
	v_cndmask_b32_e64 v32, v228, v230, s[78:79]                // 00000000A8B4: D1000020 013BCDE4
	v_lshrrev_b32_e32 v32, 16, v32                             // 00000000A8BC: 20404090
	v_cmp_u_f32_e64 s[78:79], v35, v35                         // 00000000A8C0: D048004E 00024723
	v_bfe_u32 v228, v35, 16, 1                                 // 00000000A8C8: D1C800E4 02052123
	v_add3_u32 v228, v35, v228, v231                           // 00000000A8D0: D1FF00E4 079FC923
	v_cndmask_b32_e64 v33, v228, v230, s[78:79]                // 00000000A8D8: D1000021 013BCDE4
	v_and_or_b32 v187, v33, v229, v32                          // 00000000A8E0: D20100BB 0483CB21
	ds_write_b64 v27, v[180:181]                               // 00000000A8E8: D89A0000 0000B41B
	ds_write_b64 v27, v[182:183] offset:544                    // 00000000A8F0: D89A0220 0000B61B
	ds_write_b64 v27, v[184:185] offset:1088                   // 00000000A8F8: D89A0440 0000B81B
	ds_write_b64 v27, v[186:187] offset:1632                   // 00000000A900: D89A0660 0000BA1B
	s_waitcnt lgkmcnt(0)                                       // 00000000A908: BF8CC07F
	s_barrier                                                  // 00000000A90C: BF8A0000
	ds_read_b64 v[180:181], v26                                // 00000000A910: D8EC0000 B400001A
	ds_read_b64 v[182:183], v26 offset:128                     // 00000000A918: D8EC0080 B600001A
	ds_read_b64 v[184:185], v26 offset:64                      // 00000000A920: D8EC0040 B800001A
	ds_read_b64 v[186:187], v26 offset:192                     // 00000000A928: D8EC00C0 BA00001A
	s_waitcnt lgkmcnt(0)                                       // 00000000A930: BF8CC07F
	s_mov_b32 s70, s53                                         // 00000000A934: BEC60035
	buffer_store_dwordx4 v[180:183], v10, s[40:43], 0 idxen    // 00000000A938: E07C2000 800AB40A
	s_mul_i32 s60, 2, s70                                      // 00000000A940: 923C4682
	v_add_u32_e32 v10, s60, v10                                // 00000000A944: 6814143C
	buffer_store_dwordx4 v[184:187], v10, s[40:43], 0 idxen    // 00000000A948: E07C2000 800AB80A
	s_mul_i32 s60, 2, s70                                      // 00000000A950: 923C4682
	v_add_u32_e32 v10, s60, v10                                // 00000000A954: 6814143C
	s_mul_i32 s60, 12, s70                                     // 00000000A958: 923C468C
	v_add_u32_e32 v10, s60, v10                                // 00000000A95C: 6814143C
	s_cmp_ge_i32 1, s72                                        // 00000000A960: BF034881
	s_cbranch_scc1 label_1C8E                                  // 00000000A964: BF850190
	v_mov_b32_e32 v34, v196                                    // 00000000A968: 7E4403C4
	v_mov_b32_e32 v35, v197                                    // 00000000A96C: 7E4603C5
	v_cmp_u_f32_e64 s[78:79], v34, v34                         // 00000000A970: D048004E 00024522
	v_bfe_u32 v228, v34, 16, 1                                 // 00000000A978: D1C800E4 02052122
	v_add3_u32 v228, v34, v228, v231                           // 00000000A980: D1FF00E4 079FC922
	v_cndmask_b32_e64 v32, v228, v230, s[78:79]                // 00000000A988: D1000020 013BCDE4
	v_lshrrev_b32_e32 v32, 16, v32                             // 00000000A990: 20404090
	v_cmp_u_f32_e64 s[78:79], v35, v35                         // 00000000A994: D048004E 00024723
	v_bfe_u32 v228, v35, 16, 1                                 // 00000000A99C: D1C800E4 02052123
	v_add3_u32 v228, v35, v228, v231                           // 00000000A9A4: D1FF00E4 079FC923
	v_cndmask_b32_e64 v33, v228, v230, s[78:79]                // 00000000A9AC: D1000021 013BCDE4
	v_and_or_b32 v188, v33, v229, v32                          // 00000000A9B4: D20100BC 0483CB21
	v_mov_b32_e32 v34, v198                                    // 00000000A9BC: 7E4403C6
	v_mov_b32_e32 v35, v199                                    // 00000000A9C0: 7E4603C7
	v_cmp_u_f32_e64 s[78:79], v34, v34                         // 00000000A9C4: D048004E 00024522
	v_bfe_u32 v228, v34, 16, 1                                 // 00000000A9CC: D1C800E4 02052122
	v_add3_u32 v228, v34, v228, v231                           // 00000000A9D4: D1FF00E4 079FC922
	v_cndmask_b32_e64 v32, v228, v230, s[78:79]                // 00000000A9DC: D1000020 013BCDE4
	v_lshrrev_b32_e32 v32, 16, v32                             // 00000000A9E4: 20404090
	v_cmp_u_f32_e64 s[78:79], v35, v35                         // 00000000A9E8: D048004E 00024723
	v_bfe_u32 v228, v35, 16, 1                                 // 00000000A9F0: D1C800E4 02052123
	v_add3_u32 v228, v35, v228, v231                           // 00000000A9F8: D1FF00E4 079FC923
	v_cndmask_b32_e64 v33, v228, v230, s[78:79]                // 00000000AA00: D1000021 013BCDE4
	v_and_or_b32 v189, v33, v229, v32                          // 00000000AA08: D20100BD 0483CB21
	v_mov_b32_e32 v34, v200                                    // 00000000AA10: 7E4403C8
	v_mov_b32_e32 v35, v201                                    // 00000000AA14: 7E4603C9
	v_cmp_u_f32_e64 s[78:79], v34, v34                         // 00000000AA18: D048004E 00024522
	v_bfe_u32 v228, v34, 16, 1                                 // 00000000AA20: D1C800E4 02052122
	v_add3_u32 v228, v34, v228, v231                           // 00000000AA28: D1FF00E4 079FC922
	v_cndmask_b32_e64 v32, v228, v230, s[78:79]                // 00000000AA30: D1000020 013BCDE4
	v_lshrrev_b32_e32 v32, 16, v32                             // 00000000AA38: 20404090
	v_cmp_u_f32_e64 s[78:79], v35, v35                         // 00000000AA3C: D048004E 00024723
	v_bfe_u32 v228, v35, 16, 1                                 // 00000000AA44: D1C800E4 02052123
	v_add3_u32 v228, v35, v228, v231                           // 00000000AA4C: D1FF00E4 079FC923
	v_cndmask_b32_e64 v33, v228, v230, s[78:79]                // 00000000AA54: D1000021 013BCDE4
	v_and_or_b32 v190, v33, v229, v32                          // 00000000AA5C: D20100BE 0483CB21
	v_mov_b32_e32 v34, v202                                    // 00000000AA64: 7E4403CA
	v_mov_b32_e32 v35, v203                                    // 00000000AA68: 7E4603CB
	v_cmp_u_f32_e64 s[78:79], v34, v34                         // 00000000AA6C: D048004E 00024522
	v_bfe_u32 v228, v34, 16, 1                                 // 00000000AA74: D1C800E4 02052122
	v_add3_u32 v228, v34, v228, v231                           // 00000000AA7C: D1FF00E4 079FC922
	v_cndmask_b32_e64 v32, v228, v230, s[78:79]                // 00000000AA84: D1000020 013BCDE4
	v_lshrrev_b32_e32 v32, 16, v32                             // 00000000AA8C: 20404090
	v_cmp_u_f32_e64 s[78:79], v35, v35                         // 00000000AA90: D048004E 00024723
	v_bfe_u32 v228, v35, 16, 1                                 // 00000000AA98: D1C800E4 02052123
	v_add3_u32 v228, v35, v228, v231                           // 00000000AAA0: D1FF00E4 079FC923
	v_cndmask_b32_e64 v33, v228, v230, s[78:79]                // 00000000AAA8: D1000021 013BCDE4
	v_and_or_b32 v191, v33, v229, v32                          // 00000000AAB0: D20100BF 0483CB21
	v_mov_b32_e32 v34, v204                                    // 00000000AAB8: 7E4403CC
	v_mov_b32_e32 v35, v205                                    // 00000000AABC: 7E4603CD
	v_cmp_u_f32_e64 s[78:79], v34, v34                         // 00000000AAC0: D048004E 00024522
	v_bfe_u32 v228, v34, 16, 1                                 // 00000000AAC8: D1C800E4 02052122
	v_add3_u32 v228, v34, v228, v231                           // 00000000AAD0: D1FF00E4 079FC922
	v_cndmask_b32_e64 v32, v228, v230, s[78:79]                // 00000000AAD8: D1000020 013BCDE4
	v_lshrrev_b32_e32 v32, 16, v32                             // 00000000AAE0: 20404090
	v_cmp_u_f32_e64 s[78:79], v35, v35                         // 00000000AAE4: D048004E 00024723
	v_bfe_u32 v228, v35, 16, 1                                 // 00000000AAEC: D1C800E4 02052123
	v_add3_u32 v228, v35, v228, v231                           // 00000000AAF4: D1FF00E4 079FC923
	v_cndmask_b32_e64 v33, v228, v230, s[78:79]                // 00000000AAFC: D1000021 013BCDE4
	v_and_or_b32 v192, v33, v229, v32                          // 00000000AB04: D20100C0 0483CB21
	v_mov_b32_e32 v34, v206                                    // 00000000AB0C: 7E4403CE
	v_mov_b32_e32 v35, v207                                    // 00000000AB10: 7E4603CF
	v_cmp_u_f32_e64 s[78:79], v34, v34                         // 00000000AB14: D048004E 00024522
	v_bfe_u32 v228, v34, 16, 1                                 // 00000000AB1C: D1C800E4 02052122
	v_add3_u32 v228, v34, v228, v231                           // 00000000AB24: D1FF00E4 079FC922
	v_cndmask_b32_e64 v32, v228, v230, s[78:79]                // 00000000AB2C: D1000020 013BCDE4
	v_lshrrev_b32_e32 v32, 16, v32                             // 00000000AB34: 20404090
	v_cmp_u_f32_e64 s[78:79], v35, v35                         // 00000000AB38: D048004E 00024723
	v_bfe_u32 v228, v35, 16, 1                                 // 00000000AB40: D1C800E4 02052123
	v_add3_u32 v228, v35, v228, v231                           // 00000000AB48: D1FF00E4 079FC923
	v_cndmask_b32_e64 v33, v228, v230, s[78:79]                // 00000000AB50: D1000021 013BCDE4
	v_and_or_b32 v193, v33, v229, v32                          // 00000000AB58: D20100C1 0483CB21
	v_mov_b32_e32 v34, v208                                    // 00000000AB60: 7E4403D0
	v_mov_b32_e32 v35, v209                                    // 00000000AB64: 7E4603D1
	v_cmp_u_f32_e64 s[78:79], v34, v34                         // 00000000AB68: D048004E 00024522
	v_bfe_u32 v228, v34, 16, 1                                 // 00000000AB70: D1C800E4 02052122
	v_add3_u32 v228, v34, v228, v231                           // 00000000AB78: D1FF00E4 079FC922
	v_cndmask_b32_e64 v32, v228, v230, s[78:79]                // 00000000AB80: D1000020 013BCDE4
	v_lshrrev_b32_e32 v32, 16, v32                             // 00000000AB88: 20404090
	v_cmp_u_f32_e64 s[78:79], v35, v35                         // 00000000AB8C: D048004E 00024723
	v_bfe_u32 v228, v35, 16, 1                                 // 00000000AB94: D1C800E4 02052123
	v_add3_u32 v228, v35, v228, v231                           // 00000000AB9C: D1FF00E4 079FC923
	v_cndmask_b32_e64 v33, v228, v230, s[78:79]                // 00000000ABA4: D1000021 013BCDE4
	v_and_or_b32 v194, v33, v229, v32                          // 00000000ABAC: D20100C2 0483CB21
	v_mov_b32_e32 v34, v210                                    // 00000000ABB4: 7E4403D2
	v_mov_b32_e32 v35, v211                                    // 00000000ABB8: 7E4603D3
	v_cmp_u_f32_e64 s[78:79], v34, v34                         // 00000000ABBC: D048004E 00024522
	v_bfe_u32 v228, v34, 16, 1                                 // 00000000ABC4: D1C800E4 02052122
	v_add3_u32 v228, v34, v228, v231                           // 00000000ABCC: D1FF00E4 079FC922
	v_cndmask_b32_e64 v32, v228, v230, s[78:79]                // 00000000ABD4: D1000020 013BCDE4
	v_lshrrev_b32_e32 v32, 16, v32                             // 00000000ABDC: 20404090
	v_cmp_u_f32_e64 s[78:79], v35, v35                         // 00000000ABE0: D048004E 00024723
	v_bfe_u32 v228, v35, 16, 1                                 // 00000000ABE8: D1C800E4 02052123
	v_add3_u32 v228, v35, v228, v231                           // 00000000ABF0: D1FF00E4 079FC923
	v_cndmask_b32_e64 v33, v228, v230, s[78:79]                // 00000000ABF8: D1000021 013BCDE4
	v_and_or_b32 v195, v33, v229, v32                          // 00000000AC00: D20100C3 0483CB21
	ds_write_b64 v27, v[188:189] offset:8704                   // 00000000AC08: D89A2200 0000BC1B
	ds_write_b64 v27, v[190:191] offset:9248                   // 00000000AC10: D89A2420 0000BE1B
	ds_write_b64 v27, v[192:193] offset:9792                   // 00000000AC18: D89A2640 0000C01B
	ds_write_b64 v27, v[194:195] offset:10336                  // 00000000AC20: D89A2860 0000C21B
	s_waitcnt lgkmcnt(0)                                       // 00000000AC28: BF8CC07F
	s_barrier                                                  // 00000000AC2C: BF8A0000
	ds_read_b64 v[188:189], v26 offset:8704                    // 00000000AC30: D8EC2200 BC00001A
	ds_read_b64 v[190:191], v26 offset:8832                    // 00000000AC38: D8EC2280 BE00001A
	ds_read_b64 v[192:193], v26 offset:8768                    // 00000000AC40: D8EC2240 C000001A
	ds_read_b64 v[194:195], v26 offset:8896                    // 00000000AC48: D8EC22C0 C200001A
	s_waitcnt lgkmcnt(0)                                       // 00000000AC50: BF8CC07F
	s_mov_b32 s70, s53                                         // 00000000AC54: BEC60035
	buffer_store_dwordx4 v[188:191], v10, s[40:43], 0 idxen    // 00000000AC58: E07C2000 800ABC0A
	s_mul_i32 s60, 2, s70                                      // 00000000AC60: 923C4682
	v_add_u32_e32 v10, s60, v10                                // 00000000AC64: 6814143C
	buffer_store_dwordx4 v[192:195], v10, s[40:43], 0 idxen    // 00000000AC68: E07C2000 800AC00A
	s_mul_i32 s60, 2, s70                                      // 00000000AC70: 923C4682
	v_add_u32_e32 v10, s60, v10                                // 00000000AC74: 6814143C
	s_mul_i32 s60, 12, s70                                     // 00000000AC78: 923C468C
	v_add_u32_e32 v10, s60, v10                                // 00000000AC7C: 6814143C
	s_cmp_ge_i32 2, s72                                        // 00000000AC80: BF034882
	s_cbranch_scc1 label_1C8E                                  // 00000000AC84: BF8500C8
	v_mov_b32_e32 v34, v212                                    // 00000000AC88: 7E4403D4
	v_mov_b32_e32 v35, v213                                    // 00000000AC8C: 7E4603D5
	v_cmp_u_f32_e64 s[78:79], v34, v34                         // 00000000AC90: D048004E 00024522
	v_bfe_u32 v228, v34, 16, 1                                 // 00000000AC98: D1C800E4 02052122
	v_add3_u32 v228, v34, v228, v231                           // 00000000ACA0: D1FF00E4 079FC922
	v_cndmask_b32_e64 v32, v228, v230, s[78:79]                // 00000000ACA8: D1000020 013BCDE4
	v_lshrrev_b32_e32 v32, 16, v32                             // 00000000ACB0: 20404090
	v_cmp_u_f32_e64 s[78:79], v35, v35                         // 00000000ACB4: D048004E 00024723
	v_bfe_u32 v228, v35, 16, 1                                 // 00000000ACBC: D1C800E4 02052123
	v_add3_u32 v228, v35, v228, v231                           // 00000000ACC4: D1FF00E4 079FC923
	v_cndmask_b32_e64 v33, v228, v230, s[78:79]                // 00000000ACCC: D1000021 013BCDE4
	v_and_or_b32 v196, v33, v229, v32                          // 00000000ACD4: D20100C4 0483CB21
	v_mov_b32_e32 v34, v214                                    // 00000000ACDC: 7E4403D6
	v_mov_b32_e32 v35, v215                                    // 00000000ACE0: 7E4603D7
	v_cmp_u_f32_e64 s[78:79], v34, v34                         // 00000000ACE4: D048004E 00024522
	v_bfe_u32 v228, v34, 16, 1                                 // 00000000ACEC: D1C800E4 02052122
	v_add3_u32 v228, v34, v228, v231                           // 00000000ACF4: D1FF00E4 079FC922
	v_cndmask_b32_e64 v32, v228, v230, s[78:79]                // 00000000ACFC: D1000020 013BCDE4
	v_lshrrev_b32_e32 v32, 16, v32                             // 00000000AD04: 20404090
	v_cmp_u_f32_e64 s[78:79], v35, v35                         // 00000000AD08: D048004E 00024723
	v_bfe_u32 v228, v35, 16, 1                                 // 00000000AD10: D1C800E4 02052123
	v_add3_u32 v228, v35, v228, v231                           // 00000000AD18: D1FF00E4 079FC923
	v_cndmask_b32_e64 v33, v228, v230, s[78:79]                // 00000000AD20: D1000021 013BCDE4
	v_and_or_b32 v197, v33, v229, v32                          // 00000000AD28: D20100C5 0483CB21
	v_mov_b32_e32 v34, v216                                    // 00000000AD30: 7E4403D8
	v_mov_b32_e32 v35, v217                                    // 00000000AD34: 7E4603D9
	v_cmp_u_f32_e64 s[78:79], v34, v34                         // 00000000AD38: D048004E 00024522
	v_bfe_u32 v228, v34, 16, 1                                 // 00000000AD40: D1C800E4 02052122
	v_add3_u32 v228, v34, v228, v231                           // 00000000AD48: D1FF00E4 079FC922
	v_cndmask_b32_e64 v32, v228, v230, s[78:79]                // 00000000AD50: D1000020 013BCDE4
	v_lshrrev_b32_e32 v32, 16, v32                             // 00000000AD58: 20404090
	v_cmp_u_f32_e64 s[78:79], v35, v35                         // 00000000AD5C: D048004E 00024723
	v_bfe_u32 v228, v35, 16, 1                                 // 00000000AD64: D1C800E4 02052123
	v_add3_u32 v228, v35, v228, v231                           // 00000000AD6C: D1FF00E4 079FC923
	v_cndmask_b32_e64 v33, v228, v230, s[78:79]                // 00000000AD74: D1000021 013BCDE4
	v_and_or_b32 v198, v33, v229, v32                          // 00000000AD7C: D20100C6 0483CB21
	v_mov_b32_e32 v34, v218                                    // 00000000AD84: 7E4403DA
	v_mov_b32_e32 v35, v219                                    // 00000000AD88: 7E4603DB
	v_cmp_u_f32_e64 s[78:79], v34, v34                         // 00000000AD8C: D048004E 00024522
	v_bfe_u32 v228, v34, 16, 1                                 // 00000000AD94: D1C800E4 02052122
	v_add3_u32 v228, v34, v228, v231                           // 00000000AD9C: D1FF00E4 079FC922
	v_cndmask_b32_e64 v32, v228, v230, s[78:79]                // 00000000ADA4: D1000020 013BCDE4
	v_lshrrev_b32_e32 v32, 16, v32                             // 00000000ADAC: 20404090
	v_cmp_u_f32_e64 s[78:79], v35, v35                         // 00000000ADB0: D048004E 00024723
	v_bfe_u32 v228, v35, 16, 1                                 // 00000000ADB8: D1C800E4 02052123
	v_add3_u32 v228, v35, v228, v231                           // 00000000ADC0: D1FF00E4 079FC923
	v_cndmask_b32_e64 v33, v228, v230, s[78:79]                // 00000000ADC8: D1000021 013BCDE4
	v_and_or_b32 v199, v33, v229, v32                          // 00000000ADD0: D20100C7 0483CB21
	v_mov_b32_e32 v34, v220                                    // 00000000ADD8: 7E4403DC
	v_mov_b32_e32 v35, v221                                    // 00000000ADDC: 7E4603DD
	v_cmp_u_f32_e64 s[78:79], v34, v34                         // 00000000ADE0: D048004E 00024522
	v_bfe_u32 v228, v34, 16, 1                                 // 00000000ADE8: D1C800E4 02052122
	v_add3_u32 v228, v34, v228, v231                           // 00000000ADF0: D1FF00E4 079FC922
	v_cndmask_b32_e64 v32, v228, v230, s[78:79]                // 00000000ADF8: D1000020 013BCDE4
	v_lshrrev_b32_e32 v32, 16, v32                             // 00000000AE00: 20404090
	v_cmp_u_f32_e64 s[78:79], v35, v35                         // 00000000AE04: D048004E 00024723
	v_bfe_u32 v228, v35, 16, 1                                 // 00000000AE0C: D1C800E4 02052123
	v_add3_u32 v228, v35, v228, v231                           // 00000000AE14: D1FF00E4 079FC923
	v_cndmask_b32_e64 v33, v228, v230, s[78:79]                // 00000000AE1C: D1000021 013BCDE4
	v_and_or_b32 v200, v33, v229, v32                          // 00000000AE24: D20100C8 0483CB21
	v_mov_b32_e32 v34, v222                                    // 00000000AE2C: 7E4403DE
	v_mov_b32_e32 v35, v223                                    // 00000000AE30: 7E4603DF
	v_cmp_u_f32_e64 s[78:79], v34, v34                         // 00000000AE34: D048004E 00024522
	v_bfe_u32 v228, v34, 16, 1                                 // 00000000AE3C: D1C800E4 02052122
	v_add3_u32 v228, v34, v228, v231                           // 00000000AE44: D1FF00E4 079FC922
	v_cndmask_b32_e64 v32, v228, v230, s[78:79]                // 00000000AE4C: D1000020 013BCDE4
	v_lshrrev_b32_e32 v32, 16, v32                             // 00000000AE54: 20404090
	v_cmp_u_f32_e64 s[78:79], v35, v35                         // 00000000AE58: D048004E 00024723
	v_bfe_u32 v228, v35, 16, 1                                 // 00000000AE60: D1C800E4 02052123
	v_add3_u32 v228, v35, v228, v231                           // 00000000AE68: D1FF00E4 079FC923
	v_cndmask_b32_e64 v33, v228, v230, s[78:79]                // 00000000AE70: D1000021 013BCDE4
	v_and_or_b32 v201, v33, v229, v32                          // 00000000AE78: D20100C9 0483CB21
	v_mov_b32_e32 v34, v224                                    // 00000000AE80: 7E4403E0
	v_mov_b32_e32 v35, v225                                    // 00000000AE84: 7E4603E1
	v_cmp_u_f32_e64 s[78:79], v34, v34                         // 00000000AE88: D048004E 00024522
	v_bfe_u32 v228, v34, 16, 1                                 // 00000000AE90: D1C800E4 02052122
	v_add3_u32 v228, v34, v228, v231                           // 00000000AE98: D1FF00E4 079FC922
	v_cndmask_b32_e64 v32, v228, v230, s[78:79]                // 00000000AEA0: D1000020 013BCDE4
	v_lshrrev_b32_e32 v32, 16, v32                             // 00000000AEA8: 20404090
	v_cmp_u_f32_e64 s[78:79], v35, v35                         // 00000000AEAC: D048004E 00024723
	v_bfe_u32 v228, v35, 16, 1                                 // 00000000AEB4: D1C800E4 02052123
	v_add3_u32 v228, v35, v228, v231                           // 00000000AEBC: D1FF00E4 079FC923
	v_cndmask_b32_e64 v33, v228, v230, s[78:79]                // 00000000AEC4: D1000021 013BCDE4
	v_and_or_b32 v202, v33, v229, v32                          // 00000000AECC: D20100CA 0483CB21
	v_mov_b32_e32 v34, v226                                    // 00000000AED4: 7E4403E2
	v_mov_b32_e32 v35, v227                                    // 00000000AED8: 7E4603E3
	v_cmp_u_f32_e64 s[78:79], v34, v34                         // 00000000AEDC: D048004E 00024522
	v_bfe_u32 v228, v34, 16, 1                                 // 00000000AEE4: D1C800E4 02052122
	v_add3_u32 v228, v34, v228, v231                           // 00000000AEEC: D1FF00E4 079FC922
	v_cndmask_b32_e64 v32, v228, v230, s[78:79]                // 00000000AEF4: D1000020 013BCDE4
	v_lshrrev_b32_e32 v32, 16, v32                             // 00000000AEFC: 20404090
	v_cmp_u_f32_e64 s[78:79], v35, v35                         // 00000000AF00: D048004E 00024723
	v_bfe_u32 v228, v35, 16, 1                                 // 00000000AF08: D1C800E4 02052123
	v_add3_u32 v228, v35, v228, v231                           // 00000000AF10: D1FF00E4 079FC923
	v_cndmask_b32_e64 v33, v228, v230, s[78:79]                // 00000000AF18: D1000021 013BCDE4
	v_and_or_b32 v203, v33, v229, v32                          // 00000000AF20: D20100CB 0483CB21
	ds_write_b64 v27, v[196:197] offset:17408                  // 00000000AF28: D89A4400 0000C41B
	ds_write_b64 v27, v[198:199] offset:17952                  // 00000000AF30: D89A4620 0000C61B
	ds_write_b64 v27, v[200:201] offset:18496                  // 00000000AF38: D89A4840 0000C81B
	ds_write_b64 v27, v[202:203] offset:19040                  // 00000000AF40: D89A4A60 0000CA1B
	s_waitcnt lgkmcnt(0)                                       // 00000000AF48: BF8CC07F
	s_barrier                                                  // 00000000AF4C: BF8A0000
	ds_read_b64 v[196:197], v26 offset:17408                   // 00000000AF50: D8EC4400 C400001A
	ds_read_b64 v[198:199], v26 offset:17536                   // 00000000AF58: D8EC4480 C600001A
	ds_read_b64 v[200:201], v26 offset:17472                   // 00000000AF60: D8EC4440 C800001A
	ds_read_b64 v[202:203], v26 offset:17600                   // 00000000AF68: D8EC44C0 CA00001A
	s_waitcnt lgkmcnt(0)                                       // 00000000AF70: BF8CC07F
	s_mov_b32 s70, s53                                         // 00000000AF74: BEC60035
	buffer_store_dwordx4 v[196:199], v10, s[40:43], 0 idxen    // 00000000AF78: E07C2000 800AC40A
	s_mul_i32 s60, 2, s70                                      // 00000000AF80: 923C4682
	v_add_u32_e32 v10, s60, v10                                // 00000000AF84: 6814143C
	buffer_store_dwordx4 v[200:203], v10, s[40:43], 0 idxen    // 00000000AF88: E07C2000 800AC80A
	s_mul_i32 s60, 2, s70                                      // 00000000AF90: 923C4682
	v_add_u32_e32 v10, s60, v10                                // 00000000AF94: 6814143C
	s_mul_i32 s60, 12, s70                                     // 00000000AF98: 923C468C
	v_add_u32_e32 v10, s60, v10                                // 00000000AF9C: 6814143C
	s_cmp_ge_i32 3, s72                                        // 00000000AFA0: BF034883
	s_cbranch_scc1 label_1C8E                                  // 00000000AFA4: BF850000

000000000000afa8 <label_1C8E>:
	s_waitcnt vmcnt(0) expcnt(0) lgkmcnt(0)                    // 00000000AFA8: BF8C0000
	s_sub_i32 s60, s77, 1                                      // 00000000AFAC: 81BC814D
	s_sub_i32 s2, s60, s2                                      // 00000000AFB0: 8182023C
	s_addk_i32 s75, 0x1                                        // 00000000AFB4: B74B0001
	s_cmp_lt_i32 s75, s76                                      // 00000000AFB8: BF044C4B
	s_cbranch_scc1 label_0161                                  // 00000000AFBC: BF85E4F1

000000000000afc0 <label_1C94>:
	s_waitcnt vmcnt(0) expcnt(0) lgkmcnt(0)                    // 00000000AFC0: BF8C0000
	s_endpgm                                                   // 00000000AFC4: BF810000
